;; amdgpu-corpus repo=ROCm/rocFFT kind=compiled arch=gfx1030 opt=O3
	.text
	.amdgcn_target "amdgcn-amd-amdhsa--gfx1030"
	.amdhsa_code_object_version 6
	.protected	bluestein_single_back_len864_dim1_sp_op_CI_CI ; -- Begin function bluestein_single_back_len864_dim1_sp_op_CI_CI
	.globl	bluestein_single_back_len864_dim1_sp_op_CI_CI
	.p2align	8
	.type	bluestein_single_back_len864_dim1_sp_op_CI_CI,@function
bluestein_single_back_len864_dim1_sp_op_CI_CI: ; @bluestein_single_back_len864_dim1_sp_op_CI_CI
; %bb.0:
	s_load_dwordx4 s[8:11], s[4:5], 0x28
	v_mul_u32_u24_e32 v1, 0x4be, v0
	v_mov_b32_e32 v121, 0
	s_mov_b32 s0, exec_lo
	v_lshrrev_b32_e32 v1, 16, v1
	v_add_nc_u32_e32 v120, s6, v1
	s_waitcnt lgkmcnt(0)
	v_cmpx_gt_u64_e64 s[8:9], v[120:121]
	s_cbranch_execz .LBB0_31
; %bb.1:
	s_clause 0x1
	s_load_dwordx4 s[0:3], s[4:5], 0x18
	s_load_dwordx2 s[16:17], s[4:5], 0x0
	v_mul_lo_u16 v1, v1, 54
	v_sub_nc_u16 v40, v0, v1
	v_and_b32_e32 v158, 0xffff, v40
	v_lshlrev_b32_e32 v157, 3, v158
	v_or_b32_e32 v159, 0x240, v158
	s_waitcnt lgkmcnt(0)
	s_load_dwordx4 s[12:15], s[0:1], 0x0
	s_clause 0x4
	global_load_dwordx2 v[139:140], v157, s[16:17]
	global_load_dwordx2 v[133:134], v157, s[16:17] offset:432
	global_load_dwordx2 v[131:132], v157, s[16:17] offset:864
	global_load_dwordx2 v[125:126], v157, s[16:17] offset:1296
	global_load_dwordx2 v[118:119], v157, s[16:17] offset:1728
	v_add_co_u32 v2, s0, s16, v157
	v_add_co_ci_u32_e64 v3, null, s17, 0, s0
	v_lshlrev_b32_e32 v161, 3, v159
	v_add_co_u32 v116, vcc_lo, 0x800, v2
	v_add_co_ci_u32_e32 v117, vcc_lo, 0, v3, vcc_lo
	v_add_co_u32 v112, vcc_lo, 0x1000, v2
	v_add_co_ci_u32_e32 v113, vcc_lo, 0, v3, vcc_lo
	;; [unrolled: 2-line block ×3, first 2 shown]
	s_waitcnt lgkmcnt(0)
	v_mad_u64_u32 v[0:1], null, s14, v120, 0
	v_mad_u64_u32 v[2:3], null, s12, v158, 0
	s_mul_i32 s1, s13, 0x120
	s_mul_hi_u32 s6, s12, 0x120
	s_mul_i32 s0, s12, 0x120
	s_add_i32 s1, s6, s1
	s_mul_i32 s7, s13, 0xfffff8b0
	global_load_dwordx2 v[141:142], v161, s[16:17]
	v_mad_u64_u32 v[4:5], null, s15, v120, v[1:2]
	v_mad_u64_u32 v[5:6], null, s12, v159, 0
	s_lshl_b64 s[14:15], s[0:1], 3
	s_sub_i32 s6, s7, s12
	s_clause 0x6
	global_load_dwordx2 v[147:148], v[116:117], off offset:256
	global_load_dwordx2 v[145:146], v[116:117], off offset:688
	;; [unrolled: 1-line block ×7, first 2 shown]
	s_mul_hi_u32 s9, s12, 0xfffffdf6
	v_mad_u64_u32 v[7:8], null, s13, v158, v[3:4]
	v_mov_b32_e32 v1, v4
	v_mov_b32_e32 v4, v6
	s_mul_i32 s8, s13, 0xfffffdf6
	s_sub_i32 s1, s9, s12
	s_mul_i32 s0, s12, 0xfffffdf6
	v_lshlrev_b64 v[0:1], 3, v[0:1]
	v_mov_b32_e32 v3, v7
	v_mad_u64_u32 v[6:7], null, s13, v159, v[4:5]
	s_add_i32 s1, s1, s8
	v_lshlrev_b64 v[2:3], 3, v[2:3]
	v_add_co_u32 v8, vcc_lo, s10, v0
	v_add_co_ci_u32_e32 v9, vcc_lo, s11, v1, vcc_lo
	v_lshlrev_b64 v[4:5], 3, v[5:6]
	v_add_co_u32 v0, vcc_lo, v8, v2
	v_add_co_ci_u32_e32 v1, vcc_lo, v9, v3, vcc_lo
	s_lshl_b64 s[0:1], s[0:1], 3
	v_add_co_u32 v2, vcc_lo, v0, s14
	v_add_co_ci_u32_e32 v3, vcc_lo, s15, v1, vcc_lo
	v_add_co_u32 v4, vcc_lo, v8, v4
	v_add_co_ci_u32_e32 v5, vcc_lo, v9, v5, vcc_lo
	v_mad_u64_u32 v[6:7], null, 0xfffff8b0, s12, v[2:3]
	s_clause 0x2
	global_load_dwordx2 v[10:11], v[0:1], off
	global_load_dwordx2 v[2:3], v[2:3], off
	;; [unrolled: 1-line block ×3, first 2 shown]
	v_add_nc_u32_e32 v7, s6, v7
	v_add_co_u32 v0, vcc_lo, v6, s14
	v_add_co_ci_u32_e32 v1, vcc_lo, s15, v7, vcc_lo
	v_add_co_u32 v8, vcc_lo, v0, s14
	global_load_dwordx2 v[6:7], v[6:7], off
	v_add_co_ci_u32_e32 v9, vcc_lo, s15, v1, vcc_lo
	v_add_co_u32 v12, vcc_lo, v8, s0
	s_clause 0x1
	global_load_dwordx2 v[14:15], v[0:1], off
	global_load_dwordx2 v[16:17], v[8:9], off
	v_add_co_ci_u32_e32 v13, vcc_lo, s1, v9, vcc_lo
	v_add_co_u32 v0, vcc_lo, v12, s14
	v_add_co_ci_u32_e32 v1, vcc_lo, s15, v13, vcc_lo
	v_add_co_u32 v8, vcc_lo, v0, s14
	global_load_dwordx2 v[12:13], v[12:13], off
	v_add_co_ci_u32_e32 v9, vcc_lo, s15, v1, vcc_lo
	global_load_dwordx2 v[18:19], v[0:1], off
	v_add_co_u32 v0, vcc_lo, v8, s0
	v_add_co_ci_u32_e32 v1, vcc_lo, s1, v9, vcc_lo
	global_load_dwordx2 v[20:21], v[8:9], off
	v_add_co_u32 v8, vcc_lo, v0, s14
	;; [unrolled: 3-line block ×6, first 2 shown]
	v_add_co_ci_u32_e32 v1, vcc_lo, s15, v29, vcc_lo
	global_load_dwordx2 v[127:128], v[116:117], off offset:1984
	global_load_dwordx2 v[28:29], v[28:29], off
	global_load_dwordx2 v[129:130], v[114:115], off offset:192
	global_load_dwordx2 v[32:33], v[0:1], off
	s_load_dwordx2 s[6:7], s[4:5], 0x38
	s_load_dwordx4 s[8:11], s[2:3], 0x0
	v_add_nc_u32_e32 v8, 0x800, v157
	v_add_nc_u32_e32 v9, 0x1000, v157
	v_cmp_gt_u16_e32 vcc_lo, 18, v40
	s_waitcnt vmcnt(16)
	v_mul_f32_e32 v34, v11, v140
	s_waitcnt vmcnt(15)
	v_mul_f32_e32 v36, v3, v148
	v_mul_f32_e32 v37, v2, v148
	s_waitcnt vmcnt(14)
	v_mul_f32_e32 v38, v5, v142
	v_mul_f32_e32 v39, v4, v142
	;; [unrolled: 1-line block ×3, first 2 shown]
	v_fmac_f32_e32 v36, v2, v147
	v_fma_f32 v37, v3, v147, -v37
	v_fmac_f32_e32 v38, v4, v141
	v_fma_f32 v39, v5, v141, -v39
	;; [unrolled: 2-line block ×3, first 2 shown]
	ds_write_b64 v157, v[36:37] offset:2304
	ds_write_b64 v157, v[38:39] offset:4608
	s_waitcnt vmcnt(13)
	v_mul_f32_e32 v2, v7, v134
	v_mul_f32_e32 v3, v6, v134
	s_waitcnt vmcnt(12)
	v_mul_f32_e32 v4, v15, v146
	v_mul_f32_e32 v5, v14, v146
	v_fmac_f32_e32 v2, v6, v133
	v_fma_f32 v3, v7, v133, -v3
	s_waitcnt vmcnt(11)
	v_mul_f32_e32 v6, v17, v144
	v_mul_f32_e32 v7, v16, v144
	v_fmac_f32_e32 v4, v14, v145
	v_fma_f32 v5, v15, v145, -v5
	ds_write2_b64 v157, v[34:35], v[2:3] offset1:54
	v_fmac_f32_e32 v6, v16, v143
	v_fma_f32 v7, v17, v143, -v7
	s_waitcnt vmcnt(10)
	v_mul_f32_e32 v2, v13, v132
	v_mul_f32_e32 v3, v12, v132
	s_waitcnt vmcnt(9)
	v_mul_f32_e32 v10, v19, v136
	v_mul_f32_e32 v11, v18, v136
	v_fmac_f32_e32 v2, v12, v131
	v_fma_f32 v3, v13, v131, -v3
	s_waitcnt vmcnt(8)
	v_mul_f32_e32 v14, v21, v138
	v_mul_f32_e32 v15, v20, v138
	v_fmac_f32_e32 v10, v18, v135
	v_fma_f32 v11, v19, v135, -v11
	v_add_nc_u32_e32 v18, 0x1400, v157
	v_fmac_f32_e32 v14, v20, v137
	v_fma_f32 v15, v21, v137, -v15
	s_waitcnt vmcnt(7)
	v_mul_f32_e32 v12, v23, v126
	v_mul_f32_e32 v13, v22, v126
	ds_write2_b64 v8, v[4:5], v[10:11] offset0:86 offset1:140
	ds_write2_b64 v9, v[6:7], v[14:15] offset0:118 offset1:172
	s_waitcnt vmcnt(6)
	v_mul_f32_e32 v4, v25, v122
	v_mul_f32_e32 v5, v24, v122
	v_fmac_f32_e32 v12, v22, v125
	v_fma_f32 v13, v23, v125, -v13
	s_waitcnt vmcnt(5)
	v_mul_f32_e32 v6, v27, v124
	v_mul_f32_e32 v7, v26, v124
	v_fmac_f32_e32 v4, v24, v121
	v_fma_f32 v5, v25, v121, -v5
	s_waitcnt vmcnt(4)
	v_mul_f32_e32 v10, v31, v119
	v_mul_f32_e32 v11, v30, v119
	v_fmac_f32_e32 v6, v26, v123
	s_waitcnt vmcnt(2)
	v_mul_f32_e32 v14, v29, v128
	v_mul_f32_e32 v15, v28, v128
	s_waitcnt vmcnt(0)
	v_mul_f32_e32 v16, v33, v130
	v_mul_f32_e32 v17, v32, v130
	v_fmac_f32_e32 v10, v30, v118
	v_fma_f32 v11, v31, v118, -v11
	v_fmac_f32_e32 v14, v28, v127
	v_fma_f32 v15, v29, v127, -v15
	v_fma_f32 v7, v27, v123, -v7
	v_fmac_f32_e32 v16, v32, v129
	v_fma_f32 v17, v33, v129, -v17
	ds_write2_b64 v157, v[2:3], v[12:13] offset0:108 offset1:162
	ds_write_b64 v157, v[10:11] offset:1728
	ds_write2_b64 v8, v[4:5], v[14:15] offset0:194 offset1:248
	ds_write2_b64 v18, v[6:7], v[16:17] offset0:98 offset1:152
	s_and_saveexec_b32 s2, vcc_lo
	s_cbranch_execz .LBB0_3
; %bb.2:
	v_add_co_u32 v0, s0, v0, s0
	v_add_co_ci_u32_e64 v1, s0, s1, v1, s0
	global_load_dwordx2 v[4:5], v[116:117], off offset:112
	global_load_dwordx2 v[2:3], v[0:1], off
	v_add_co_u32 v0, s0, v0, s14
	v_add_co_ci_u32_e64 v1, s0, s15, v1, s0
	v_add_co_u32 v6, s0, v0, s14
	v_add_co_ci_u32_e64 v7, s0, s15, v1, s0
	global_load_dwordx2 v[0:1], v[0:1], off
	s_clause 0x1
	global_load_dwordx2 v[10:11], v[112:113], off offset:368
	global_load_dwordx2 v[12:13], v[114:115], off offset:624
	global_load_dwordx2 v[6:7], v[6:7], off
	s_waitcnt vmcnt(4)
	v_mul_f32_e32 v14, v3, v5
	v_mul_f32_e32 v15, v2, v5
	v_fmac_f32_e32 v14, v2, v4
	v_fma_f32 v15, v3, v4, -v15
	s_waitcnt vmcnt(2)
	v_mul_f32_e32 v2, v1, v11
	v_mul_f32_e32 v11, v0, v11
	s_waitcnt vmcnt(0)
	v_mul_f32_e32 v5, v7, v13
	v_mul_f32_e32 v13, v6, v13
	v_fmac_f32_e32 v2, v0, v10
	v_fma_f32 v3, v1, v10, -v11
	v_fmac_f32_e32 v5, v6, v12
	v_fma_f32 v6, v7, v12, -v13
	ds_write_b64 v157, v[14:15] offset:2160
	ds_write_b64 v157, v[2:3] offset:4464
	;; [unrolled: 1-line block ×3, first 2 shown]
.LBB0_3:
	s_or_b32 exec_lo, exec_lo, s2
	v_add_nc_u32_e32 v0, 0x400, v157
	s_waitcnt lgkmcnt(0)
	s_barrier
	buffer_gl0_inv
	ds_read2_b64 v[4:7], v157 offset1:54
	ds_read2_b64 v[24:27], v0 offset0:88 offset1:160
	ds_read2_b64 v[20:23], v9 offset0:64 offset1:118
	;; [unrolled: 1-line block ×6, first 2 shown]
	ds_read_b64 v[28:29], v157 offset:6336
                                        ; implicit-def: $vgpr30
                                        ; implicit-def: $vgpr38
                                        ; implicit-def: $vgpr36
	s_and_saveexec_b32 s0, vcc_lo
	s_cbranch_execz .LBB0_5
; %bb.4:
	ds_read_b64 v[30:31], v157 offset:2160
	ds_read_b64 v[38:39], v157 offset:4464
	;; [unrolled: 1-line block ×3, first 2 shown]
.LBB0_5:
	s_or_b32 exec_lo, exec_lo, s0
	v_add_co_u32 v63, s0, v158, 54
	v_add_co_ci_u32_e64 v32, null, 0, 0, s0
	s_waitcnt lgkmcnt(5)
	v_add_f32_e32 v32, v26, v20
	v_add_f32_e32 v33, v4, v26
	v_add_co_u32 v62, null, 0x6c, v158
	v_add_co_u32 v61, null, 0xa2, v158
	v_fma_f32 v4, -0.5, v32, v4
	v_sub_f32_e32 v32, v27, v21
	v_add_f32_e32 v40, v33, v20
	v_add_f32_e32 v33, v27, v21
	;; [unrolled: 1-line block ×3, first 2 shown]
	v_sub_f32_e32 v20, v26, v20
	v_fmamk_f32 v42, v32, 0x3f5db3d7, v4
	v_fmac_f32_e32 v4, 0xbf5db3d7, v32
	s_waitcnt lgkmcnt(4)
	v_add_f32_e32 v32, v16, v22
	v_fma_f32 v5, -0.5, v33, v5
	v_add_f32_e32 v41, v27, v21
	v_add_f32_e32 v21, v6, v16
	v_sub_f32_e32 v26, v17, v23
	v_fma_f32 v6, -0.5, v32, v6
	v_fmamk_f32 v43, v20, 0xbf5db3d7, v5
	v_fmac_f32_e32 v5, 0x3f5db3d7, v20
	v_add_f32_e32 v20, v21, v22
	v_add_f32_e32 v21, v17, v23
	;; [unrolled: 1-line block ×3, first 2 shown]
	v_fmamk_f32 v44, v26, 0x3f5db3d7, v6
	v_fmac_f32_e32 v6, 0xbf5db3d7, v26
	s_waitcnt lgkmcnt(2)
	v_add_f32_e32 v26, v18, v12
	v_fmac_f32_e32 v7, -0.5, v21
	v_sub_f32_e32 v16, v16, v22
	v_add_f32_e32 v21, v17, v23
	v_add_f32_e32 v17, v0, v18
	v_fma_f32 v0, -0.5, v26, v0
	v_sub_f32_e32 v23, v19, v13
	v_fmamk_f32 v45, v16, 0xbf5db3d7, v7
	v_fmac_f32_e32 v7, 0x3f5db3d7, v16
	v_add_f32_e32 v16, v17, v12
	v_add_f32_e32 v17, v19, v13
	;; [unrolled: 1-line block ×3, first 2 shown]
	v_fmamk_f32 v22, v23, 0x3f5db3d7, v0
	v_fmac_f32_e32 v0, 0xbf5db3d7, v23
	s_waitcnt lgkmcnt(1)
	v_add_f32_e32 v23, v8, v14
	v_fma_f32 v1, -0.5, v17, v1
	v_sub_f32_e32 v12, v18, v12
	v_add_f32_e32 v17, v19, v13
	v_add_f32_e32 v13, v2, v8
	v_fma_f32 v2, -0.5, v23, v2
	v_sub_f32_e32 v19, v9, v15
	v_fmamk_f32 v23, v12, 0xbf5db3d7, v1
	v_fmac_f32_e32 v1, 0x3f5db3d7, v12
	v_add_f32_e32 v12, v13, v14
	v_add_f32_e32 v13, v9, v15
	;; [unrolled: 1-line block ×3, first 2 shown]
	v_fmamk_f32 v18, v19, 0x3f5db3d7, v2
	v_fmac_f32_e32 v2, 0xbf5db3d7, v19
	s_waitcnt lgkmcnt(0)
	v_add_f32_e32 v19, v10, v28
	v_fmac_f32_e32 v3, -0.5, v13
	v_sub_f32_e32 v8, v8, v14
	v_add_f32_e32 v13, v9, v15
	v_add_f32_e32 v9, v24, v10
	v_fma_f32 v24, -0.5, v19, v24
	v_sub_f32_e32 v14, v11, v29
	v_fmamk_f32 v19, v8, 0xbf5db3d7, v3
	v_fmac_f32_e32 v3, 0x3f5db3d7, v8
	v_add_f32_e32 v32, v9, v28
	v_add_f32_e32 v8, v11, v29
	;; [unrolled: 1-line block ×4, first 2 shown]
	v_add_co_u32 v60, null, 0xd8, v158
	v_fmac_f32_e32 v25, -0.5, v8
	v_sub_f32_e32 v8, v10, v28
	v_add_f32_e32 v33, v9, v29
	v_add_f32_e32 v9, v30, v38
	v_fmac_f32_e32 v30, -0.5, v11
	v_sub_f32_e32 v10, v39, v37
	v_add_f32_e32 v11, v39, v37
	v_fmamk_f32 v35, v8, 0xbf5db3d7, v25
	v_fmac_f32_e32 v25, 0x3f5db3d7, v8
	v_add_f32_e32 v8, v31, v39
	v_fmamk_f32 v28, v10, 0x3f5db3d7, v30
	v_fmac_f32_e32 v31, -0.5, v11
	v_fmac_f32_e32 v30, 0xbf5db3d7, v10
	v_mul_lo_u16 v10, v158, 3
	v_mov_b32_e32 v11, 3
	v_add_f32_e32 v26, v9, v36
	v_sub_f32_e32 v9, v38, v36
	v_add_co_u32 v172, s0, 0x10e, v158
	v_lshlrev_b32_sdwa v165, v11, v10 dst_sel:DWORD dst_unused:UNUSED_PAD src0_sel:DWORD src1_sel:WORD_0
	v_add_f32_e32 v27, v8, v37
	v_fmamk_f32 v29, v9, 0xbf5db3d7, v31
	v_fmac_f32_e32 v31, 0x3f5db3d7, v9
	v_mul_u32_u24_e32 v8, 3, v63
	s_barrier
	buffer_gl0_inv
	v_mul_u32_u24_e32 v9, 3, v62
	ds_write_b64 v165, v[4:5] offset:16
	v_mul_u32_u24_e32 v4, 3, v61
	v_mul_u32_u24_e32 v5, 3, v60
	v_add_co_ci_u32_e64 v173, null, 0, 0, s0
	v_fmamk_f32 v34, v14, 0x3f5db3d7, v24
	v_fmac_f32_e32 v24, 0xbf5db3d7, v14
	v_lshlrev_b32_e32 v166, 3, v8
	v_lshlrev_b32_e32 v168, 3, v9
	;; [unrolled: 1-line block ×4, first 2 shown]
	v_mul_u32_u24_e32 v169, 3, v172
	ds_write2_b64 v165, v[40:41], v[42:43] offset1:1
	ds_write2_b64 v166, v[20:21], v[44:45] offset1:1
	ds_write_b64 v166, v[6:7] offset:16
	ds_write2_b64 v168, v[16:17], v[22:23] offset1:1
	ds_write_b64 v168, v[0:1] offset:16
	ds_write2_b64 v170, v[12:13], v[18:19] offset1:1
	ds_write_b64 v170, v[2:3] offset:16
	ds_write2_b64 v167, v[32:33], v[34:35] offset1:1
	ds_write_b64 v167, v[24:25] offset:16
	s_and_saveexec_b32 s0, vcc_lo
	s_cbranch_execz .LBB0_7
; %bb.6:
	v_lshlrev_b32_e32 v0, 3, v169
	ds_write2_b64 v0, v[26:27], v[28:29] offset1:1
	ds_write_b64 v0, v[30:31] offset:16
.LBB0_7:
	s_or_b32 exec_lo, exec_lo, s0
	v_add_nc_u32_e32 v1, 0x800, v157
	v_add_nc_u32_e32 v2, 0x1000, v157
	;; [unrolled: 1-line block ×3, first 2 shown]
	s_waitcnt lgkmcnt(0)
	s_barrier
	buffer_gl0_inv
	ds_read2_b64 v[36:39], v157 offset1:54
	ds_read2_b64 v[56:59], v157 offset0:144 offset1:198
	ds_read2_b64 v[52:55], v1 offset0:32 offset1:86
	;; [unrolled: 1-line block ×5, first 2 shown]
	s_load_dwordx2 s[2:3], s[4:5], 0x8
	v_cmp_gt_u16_e64 s0, 36, v158
	s_and_saveexec_b32 s1, s0
	s_cbranch_execz .LBB0_9
; %bb.8:
	v_add_nc_u32_e32 v1, 0xc00, v157
	ds_read2_b64 v[28:31], v0 offset0:44 offset1:188
	ds_read2_b64 v[24:27], v1 offset0:12 offset1:156
	;; [unrolled: 1-line block ×3, first 2 shown]
.LBB0_9:
	s_or_b32 exec_lo, exec_lo, s1
	v_and_b32_e32 v64, 0xff, v158
	v_and_b32_e32 v1, 0xff, v63
	;; [unrolled: 1-line block ×3, first 2 shown]
	v_mul_lo_u16 v0, 0xab, v64
	v_lshrrev_b16 v67, 9, v0
	v_mul_lo_u16 v0, 0xab, v1
	v_mul_lo_u16 v1, v67, 3
	v_lshrrev_b16 v68, 9, v0
	v_sub_nc_u16 v0, v158, v1
	v_mul_lo_u16 v1, 0xab, v2
	v_mul_lo_u16 v2, v68, 3
	v_and_b32_e32 v69, 0xff, v0
	v_lshrrev_b16 v160, 9, v1
	v_sub_nc_u16 v2, v63, v2
	s_waitcnt lgkmcnt(0)
	v_mad_u64_u32 v[0:1], null, v69, 40, s[2:3]
	v_mul_lo_u16 v3, v160, 3
	v_and_b32_e32 v70, 0xff, v2
	v_sub_nc_u16 v4, v62, v3
	v_mad_u64_u32 v[2:3], null, v70, 40, s[2:3]
	s_clause 0x1
	global_load_dwordx4 v[20:23], v[0:1], off
	global_load_dwordx4 v[16:19], v[0:1], off offset:16
	v_and_b32_e32 v162, 0xff, v4
	s_clause 0x1
	global_load_dwordx2 v[153:154], v[0:1], off offset:32
	global_load_dwordx4 v[12:15], v[2:3], off
	v_mad_u64_u32 v[65:66], null, v162, 40, s[2:3]
	s_clause 0x4
	global_load_dwordx4 v[8:11], v[2:3], off offset:16
	global_load_dwordx2 v[151:152], v[2:3], off offset:32
	global_load_dwordx4 v[4:7], v[65:66], off
	global_load_dwordx4 v[0:3], v[65:66], off offset:16
	global_load_dwordx2 v[149:150], v[65:66], off offset:32
	v_mov_b32_e32 v65, 18
	s_waitcnt vmcnt(0)
	s_barrier
	buffer_gl0_inv
	v_mul_u32_u24_sdwa v66, v67, v65 dst_sel:DWORD dst_unused:UNUSED_PAD src0_sel:WORD_0 src1_sel:DWORD
	v_mul_u32_u24_sdwa v67, v68, v65 dst_sel:DWORD dst_unused:UNUSED_PAD src0_sel:WORD_0 src1_sel:DWORD
	v_add_lshl_u32 v164, v66, v69, 3
	v_add_lshl_u32 v163, v67, v70, 3
	v_mul_f32_e32 v72, v56, v21
	v_mul_f32_e32 v73, v53, v23
	;; [unrolled: 1-line block ×30, first 2 shown]
	v_fmac_f32_e32 v72, v57, v20
	v_fmac_f32_e32 v82, v59, v12
	v_fma_f32 v52, v52, v22, -v73
	v_fmac_f32_e32 v74, v53, v22
	v_fma_f32 v48, v48, v16, -v75
	;; [unrolled: 2-line block ×4, first 2 shown]
	v_fmac_f32_e32 v80, v41, v153
	v_fmac_f32_e32 v84, v55, v14
	;; [unrolled: 1-line block ×6, first 2 shown]
	v_fma_f32 v25, v26, v0, -v93
	v_fmac_f32_e32 v69, v27, v0
	v_fma_f32 v26, v30, v149, -v95
	v_fmac_f32_e32 v70, v31, v149
	v_fma_f32 v41, v54, v14, -v83
	v_fma_f32 v45, v50, v8, -v85
	;; [unrolled: 1-line block ×7, first 2 shown]
	v_fmac_f32_e32 v66, v35, v4
	v_fma_f32 v35, v24, v6, -v92
	v_fma_f32 v24, v28, v2, -v94
	v_fmac_f32_e32 v67, v29, v2
	v_add_f32_e32 v27, v36, v52
	v_add_f32_e32 v28, v52, v44
	v_sub_f32_e32 v29, v74, v78
	v_add_f32_e32 v30, v37, v74
	v_add_f32_e32 v31, v74, v78
	v_sub_f32_e32 v43, v52, v44
	v_add_f32_e32 v49, v48, v40
	v_sub_f32_e32 v50, v76, v80
	v_add_f32_e32 v51, v72, v76
	v_add_f32_e32 v52, v76, v80
	v_sub_f32_e32 v55, v84, v88
	v_add_f32_e32 v58, v39, v84
	;; [unrolled: 3-line block ×3, first 2 shown]
	v_add_f32_e32 v76, v86, v90
	v_add_f32_e32 v84, v25, v26
	v_add_f32_e32 v86, v69, v70
	v_add_f32_e32 v54, v41, v46
	v_add_f32_e32 v73, v45, v42
	v_add_f32_e32 v47, v56, v48
	v_sub_f32_e32 v48, v48, v40
	v_add_f32_e32 v53, v38, v41
	v_sub_f32_e32 v71, v41, v46
	v_add_f32_e32 v41, v57, v45
	v_sub_f32_e32 v85, v69, v70
	v_sub_f32_e32 v87, v25, v26
	v_fma_f32 v89, -0.5, v28, v36
	v_fmac_f32_e32 v56, -0.5, v49
	v_add_f32_e32 v36, v51, v80
	v_fmac_f32_e32 v72, -0.5, v52
	v_fma_f32 v49, -0.5, v84, v34
	v_fma_f32 v51, -0.5, v86, v66
	v_sub_f32_e32 v45, v45, v42
	v_add_f32_e32 v77, v35, v24
	v_add_f32_e32 v81, v68, v67
	v_fma_f32 v80, -0.5, v54, v38
	v_fmac_f32_e32 v57, -0.5, v73
	v_fmac_f32_e32 v82, -0.5, v76
	v_add_f32_e32 v44, v27, v44
	v_add_f32_e32 v30, v30, v78
	v_fma_f32 v78, -0.5, v31, v37
	v_add_f32_e32 v31, v47, v40
	v_add_f32_e32 v37, v53, v46
	;; [unrolled: 1-line block ×3, first 2 shown]
	v_fmac_f32_e32 v39, -0.5, v59
	v_add_f32_e32 v46, v41, v42
	v_add_f32_e32 v47, v75, v90
	v_fmamk_f32 v54, v50, 0x3f5db3d7, v56
	v_fmac_f32_e32 v56, 0xbf5db3d7, v50
	v_fmamk_f32 v50, v48, 0xbf5db3d7, v72
	v_fmamk_f32 v58, v85, 0x3f5db3d7, v49
	v_fmac_f32_e32 v49, 0xbf5db3d7, v85
	v_fmamk_f32 v59, v87, 0xbf5db3d7, v51
	v_fmac_f32_e32 v51, 0x3f5db3d7, v87
	v_fmac_f32_e32 v72, 0x3f5db3d7, v48
	v_sub_f32_e32 v79, v68, v67
	v_sub_f32_e32 v83, v35, v24
	v_fma_f32 v27, -0.5, v77, v32
	v_fma_f32 v28, -0.5, v81, v33
	v_fmamk_f32 v73, v55, 0x3f5db3d7, v80
	v_fmac_f32_e32 v80, 0xbf5db3d7, v55
	v_fmamk_f32 v48, v74, 0x3f5db3d7, v57
	v_fmamk_f32 v55, v45, 0xbf5db3d7, v82
	v_fmac_f32_e32 v57, 0xbf5db3d7, v74
	v_fmac_f32_e32 v82, 0x3f5db3d7, v45
	v_fmamk_f32 v53, v43, 0xbf5db3d7, v78
	v_fmac_f32_e32 v78, 0x3f5db3d7, v43
	v_add_f32_e32 v40, v44, v31
	v_add_f32_e32 v41, v30, v36
	v_sub_f32_e32 v42, v44, v31
	v_sub_f32_e32 v43, v30, v36
	v_fmamk_f32 v75, v71, 0xbf5db3d7, v39
	v_fmac_f32_e32 v39, 0x3f5db3d7, v71
	v_add_f32_e32 v44, v37, v46
	v_add_f32_e32 v45, v38, v47
	v_sub_f32_e32 v46, v37, v46
	v_sub_f32_e32 v47, v38, v47
	v_mul_f32_e32 v71, 0x3f5db3d7, v50
	v_mul_f32_e32 v76, 0xbf5db3d7, v54
	v_mul_f32_e32 v36, 0x3f5db3d7, v59
	v_mul_f32_e32 v31, -0.5, v49
	v_mul_f32_e32 v37, 0xbf5db3d7, v58
	v_mul_f32_e32 v38, -0.5, v51
	v_mul_f32_e32 v74, -0.5, v56
	;; [unrolled: 1-line block ×3, first 2 shown]
	v_fmamk_f32 v52, v29, 0x3f5db3d7, v89
	v_fmac_f32_e32 v89, 0xbf5db3d7, v29
	v_fmamk_f32 v29, v79, 0x3f5db3d7, v27
	v_fmac_f32_e32 v27, 0xbf5db3d7, v79
	;; [unrolled: 2-line block ×3, first 2 shown]
	v_mul_f32_e32 v79, 0x3f5db3d7, v55
	v_mul_f32_e32 v83, 0xbf5db3d7, v48
	v_mul_f32_e32 v81, -0.5, v57
	v_mul_f32_e32 v84, -0.5, v82
	v_fmac_f32_e32 v71, 0.5, v54
	v_fmac_f32_e32 v76, 0.5, v50
	;; [unrolled: 1-line block ×3, first 2 shown]
	v_fmac_f32_e32 v31, 0x3f5db3d7, v51
	v_fmac_f32_e32 v37, 0.5, v59
	v_fmac_f32_e32 v38, 0xbf5db3d7, v49
	v_fmac_f32_e32 v74, 0x3f5db3d7, v72
	;; [unrolled: 1-line block ×3, first 2 shown]
	v_fmac_f32_e32 v79, 0.5, v48
	v_fmac_f32_e32 v83, 0.5, v55
	v_fmac_f32_e32 v81, 0x3f5db3d7, v82
	v_fmac_f32_e32 v84, 0xbf5db3d7, v57
	v_add_f32_e32 v48, v52, v71
	v_add_f32_e32 v49, v53, v76
	v_sub_f32_e32 v104, v29, v36
	v_sub_f32_e32 v106, v27, v31
	;; [unrolled: 1-line block ×4, first 2 shown]
	v_add_f32_e32 v50, v89, v74
	v_add_f32_e32 v51, v78, v77
	v_sub_f32_e32 v52, v52, v71
	v_sub_f32_e32 v54, v89, v74
	;; [unrolled: 1-line block ×4, first 2 shown]
	v_add_f32_e32 v56, v73, v79
	v_add_f32_e32 v57, v75, v83
	;; [unrolled: 1-line block ×4, first 2 shown]
	v_sub_f32_e32 v71, v73, v79
	v_sub_f32_e32 v73, v80, v81
	;; [unrolled: 1-line block ×4, first 2 shown]
	ds_write2_b64 v164, v[40:41], v[48:49] offset1:3
	ds_write2_b64 v164, v[50:51], v[42:43] offset0:6 offset1:9
	ds_write2_b64 v164, v[52:53], v[54:55] offset0:12 offset1:15
	ds_write2_b64 v163, v[44:45], v[56:57] offset1:3
	ds_write2_b64 v163, v[58:59], v[46:47] offset0:6 offset1:9
	ds_write2_b64 v163, v[71:72], v[73:74] offset0:12 offset1:15
	s_and_saveexec_b32 s1, s0
	s_cbranch_execz .LBB0_11
; %bb.10:
	v_add_f32_e32 v33, v33, v68
	v_add_f32_e32 v39, v66, v69
	;; [unrolled: 1-line block ×10, first 2 shown]
	v_mul_u32_u24_sdwa v28, v160, v65 dst_sel:DWORD dst_unused:UNUSED_PAD src0_sel:WORD_0 src1_sel:DWORD
	v_sub_f32_e32 v33, v34, v35
	v_add_f32_e32 v35, v34, v35
	v_sub_f32_e32 v32, v24, v26
	v_add_f32_e32 v29, v29, v36
	v_add_f32_e32 v34, v24, v26
	v_add_lshl_u32 v26, v28, v162, 3
	v_add_f32_e32 v24, v27, v31
	ds_write2_b64 v26, v[34:35], v[29:30] offset1:3
	ds_write2_b64 v26, v[24:25], v[32:33] offset0:6 offset1:9
	ds_write2_b64 v26, v[104:105], v[106:107] offset0:12 offset1:15
.LBB0_11:
	s_or_b32 exec_lo, exec_lo, s1
	v_mul_lo_u16 v24, v64, 57
	s_waitcnt lgkmcnt(0)
	s_barrier
	buffer_gl0_inv
	v_mov_b32_e32 v65, 0x120
	v_lshrrev_b16 v64, 10, v24
	v_add_nc_u32_e32 v88, 0x400, v157
	v_add_nc_u32_e32 v174, 0x800, v157
	;; [unrolled: 1-line block ×4, first 2 shown]
	v_mul_lo_u16 v24, v64, 18
	v_mul_u32_u24_sdwa v69, v64, v65 dst_sel:DWORD dst_unused:UNUSED_PAD src0_sel:WORD_0 src1_sel:DWORD
	v_sub_nc_u16 v24, v158, v24
	v_and_b32_e32 v68, 0xff, v24
	v_mad_u64_u32 v[52:53], null, 0x78, v68, s[2:3]
	v_or_b32_e32 v84, v69, v68
	s_clause 0x7
	global_load_dwordx4 v[48:51], v[52:53], off offset:120
	global_load_dwordx4 v[40:43], v[52:53], off offset:136
	;; [unrolled: 1-line block ×7, first 2 shown]
	global_load_dwordx2 v[155:156], v[52:53], off offset:232
	ds_read2_b64 v[52:55], v157 offset1:54
	ds_read2_b64 v[56:59], v157 offset0:108 offset1:162
	ds_read2_b64 v[64:67], v88 offset0:88 offset1:142
	;; [unrolled: 1-line block ×6, first 2 shown]
	v_lshlrev_b32_e32 v171, 3, v84
	ds_read2_b64 v[84:87], v175 offset0:116 offset1:170
	s_waitcnt vmcnt(0) lgkmcnt(0)
	s_barrier
	buffer_gl0_inv
	v_add_nc_u32_e32 v89, 0x400, v171
	v_mul_f32_e32 v90, v55, v49
	v_mul_f32_e32 v91, v54, v49
	;; [unrolled: 1-line block ×30, first 2 shown]
	v_fma_f32 v54, v54, v48, -v90
	v_fmac_f32_e32 v91, v55, v48
	v_fma_f32 v55, v56, v50, -v92
	v_fmac_f32_e32 v93, v57, v50
	;; [unrolled: 2-line block ×15, first 2 shown]
	v_sub_f32_e32 v65, v52, v65
	v_sub_f32_e32 v73, v53, v109
	;; [unrolled: 1-line block ×16, first 2 shown]
	v_fma_f32 v52, v52, 2.0, -v65
	v_fma_f32 v53, v53, 2.0, -v73
	;; [unrolled: 1-line block ×16, first 2 shown]
	v_sub_f32_e32 v74, v65, v74
	v_add_f32_e32 v69, v73, v69
	v_sub_f32_e32 v76, v67, v76
	v_add_f32_e32 v71, v75, v71
	;; [unrolled: 2-line block ×4, first 2 shown]
	v_sub_f32_e32 v57, v52, v57
	v_sub_f32_e32 v81, v53, v81
	v_fma_f32 v65, v65, 2.0, -v74
	v_fma_f32 v73, v73, 2.0, -v69
	v_sub_f32_e32 v59, v55, v59
	v_sub_f32_e32 v83, v82, v83
	v_fma_f32 v67, v67, 2.0, -v76
	v_fma_f32 v75, v75, 2.0, -v71
	;; [unrolled: 4-line block ×4, first 2 shown]
	v_fmamk_f32 v91, v71, 0x3f3504f3, v69
	v_fmamk_f32 v90, v76, 0x3f3504f3, v74
	;; [unrolled: 1-line block ×4, first 2 shown]
	v_fma_f32 v94, v52, 2.0, -v57
	v_fma_f32 v95, v53, 2.0, -v81
	;; [unrolled: 1-line block ×8, first 2 shown]
	v_fmamk_f32 v84, v67, 0xbf3504f3, v65
	v_fmamk_f32 v86, v75, 0xbf3504f3, v73
	v_fmac_f32_e32 v91, 0x3f3504f3, v76
	v_fmamk_f32 v76, v68, 0xbf3504f3, v66
	v_fmamk_f32 v97, v79, 0xbf3504f3, v77
	v_sub_f32_e32 v83, v57, v83
	v_add_f32_e32 v96, v81, v59
	v_fmac_f32_e32 v90, 0xbf3504f3, v71
	v_sub_f32_e32 v71, v58, v87
	v_add_f32_e32 v87, v85, v64
	v_fmac_f32_e32 v92, 0xbf3504f3, v72
	v_fmac_f32_e32 v93, 0x3f3504f3, v80
	v_sub_f32_e32 v72, v94, v52
	v_sub_f32_e32 v80, v95, v53
	v_fmac_f32_e32 v84, 0xbf3504f3, v75
	v_fmac_f32_e32 v86, 0x3f3504f3, v67
	v_sub_f32_e32 v59, v54, v56
	v_sub_f32_e32 v64, v55, v82
	v_fmac_f32_e32 v76, 0xbf3504f3, v79
	v_fmac_f32_e32 v97, 0x3f3504f3, v68
	v_fma_f32 v98, v57, 2.0, -v83
	v_fma_f32 v81, v81, 2.0, -v96
	v_fma_f32 v99, v74, 2.0, -v90
	v_fma_f32 v100, v69, 2.0, -v91
	v_fma_f32 v74, v58, 2.0, -v71
	v_fma_f32 v75, v85, 2.0, -v87
	v_fma_f32 v78, v78, 2.0, -v92
	v_fma_f32 v70, v70, 2.0, -v93
	v_fmamk_f32 v52, v71, 0x3f3504f3, v83
	v_fmamk_f32 v53, v87, 0x3f3504f3, v96
	;; [unrolled: 1-line block ×4, first 2 shown]
	v_fma_f32 v79, v94, 2.0, -v72
	v_fma_f32 v82, v95, 2.0, -v80
	;; [unrolled: 1-line block ×8, first 2 shown]
	v_fmamk_f32 v54, v74, 0xbf3504f3, v98
	v_fmamk_f32 v55, v75, 0xbf3504f3, v81
	;; [unrolled: 1-line block ×4, first 2 shown]
	v_sub_f32_e32 v58, v72, v64
	v_fmamk_f32 v64, v76, 0x3ec3ef15, v84
	v_fmamk_f32 v65, v97, 0x3ec3ef15, v86
	v_fmac_f32_e32 v52, 0xbf3504f3, v87
	v_fmac_f32_e32 v53, 0x3f3504f3, v71
	;; [unrolled: 1-line block ×4, first 2 shown]
	v_sub_f32_e32 v66, v79, v67
	v_sub_f32_e32 v67, v82, v68
	v_fmamk_f32 v68, v95, 0xbf6c835e, v85
	v_fmamk_f32 v69, v77, 0xbf6c835e, v94
	v_fmac_f32_e32 v54, 0xbf3504f3, v75
	v_fmac_f32_e32 v55, 0x3f3504f3, v74
	;; [unrolled: 1-line block ×4, first 2 shown]
	v_add_f32_e32 v59, v80, v59
	v_fmac_f32_e32 v64, 0xbf6c835e, v97
	v_fmac_f32_e32 v65, 0x3f6c835e, v76
	v_fma_f32 v70, v72, 2.0, -v58
	v_fma_f32 v72, v83, 2.0, -v52
	;; [unrolled: 1-line block ×5, first 2 shown]
	v_fmac_f32_e32 v68, 0xbec3ef15, v77
	v_fmac_f32_e32 v69, 0x3ec3ef15, v95
	ds_write2_b64 v89, v[52:53], v[108:109] offset0:124 offset1:142
	v_fma_f32 v52, v79, 2.0, -v66
	v_fma_f32 v76, v98, 2.0, -v54
	;; [unrolled: 1-line block ×9, first 2 shown]
	ds_write2_b64 v171, v[72:73], v[74:75] offset0:108 offset1:126
	ds_write2_b64 v171, v[54:55], v[56:57] offset0:180 offset1:198
	v_fma_f32 v54, v85, 2.0, -v68
	v_fma_f32 v55, v94, 2.0, -v69
	ds_write2_b64 v171, v[58:59], v[64:65] offset0:216 offset1:234
	ds_write2_b64 v171, v[76:77], v[78:79] offset0:36 offset1:54
	;; [unrolled: 1-line block ×4, first 2 shown]
	ds_write2_b64 v171, v[52:53], v[54:55] offset1:18
	s_waitcnt lgkmcnt(0)
	s_barrier
	buffer_gl0_inv
	ds_read2_b64 v[84:87], v157 offset1:54
	ds_read2_b64 v[76:79], v88 offset0:88 offset1:160
	ds_read2_b64 v[88:91], v176 offset0:64 offset1:118
	;; [unrolled: 1-line block ×6, first 2 shown]
	ds_read_b64 v[110:111], v157 offset:6336
	s_and_saveexec_b32 s1, vcc_lo
	s_cbranch_execz .LBB0_13
; %bb.12:
	ds_read_b64 v[108:109], v157 offset:2160
	ds_read_b64 v[104:105], v157 offset:4464
	;; [unrolled: 1-line block ×3, first 2 shown]
.LBB0_13:
	s_or_b32 exec_lo, exec_lo, s1
	v_lshlrev_b32_e32 v52, 4, v158
	v_lshlrev_b32_e32 v53, 4, v63
	;; [unrolled: 1-line block ×4, first 2 shown]
	v_add_co_u32 v52, s1, s2, v52
	v_add_co_ci_u32_e64 v55, null, s3, 0, s1
	v_add_co_u32 v56, s4, s2, v53
	v_add_co_u32 v52, s1, 0x800, v52
	v_add_co_ci_u32_e64 v53, s1, 0, v55, s1
	v_add_co_ci_u32_e64 v55, null, s3, 0, s4
	v_add_co_u32 v57, s1, s2, v54
	v_add_co_ci_u32_e64 v58, null, s3, 0, s1
	v_add_co_u32 v54, s1, 0x800, v56
	v_add_co_ci_u32_e64 v55, s1, 0, v55, s1
	v_add_co_u32 v56, s1, 0x800, v57
	v_add_co_ci_u32_e64 v57, s1, 0, v58, s1
	s_clause 0x2
	global_load_dwordx4 v[72:75], v[52:53], off offset:232
	global_load_dwordx4 v[64:67], v[54:55], off offset:232
	;; [unrolled: 1-line block ×3, first 2 shown]
	v_lshlrev_b32_e32 v52, 4, v60
	v_add_co_u32 v53, s1, s2, v61
	v_add_co_ci_u32_e64 v54, null, s3, 0, s1
	v_add_co_u32 v55, s1, s2, v52
	v_add_co_ci_u32_e64 v60, null, s3, 0, s1
	v_add_co_u32 v52, s1, 0x800, v53
	v_add_co_ci_u32_e64 v53, s1, 0, v54, s1
	v_add_co_u32 v54, s1, 0x800, v55
	v_add_co_ci_u32_e64 v55, s1, 0, v60, s1
	s_clause 0x1
	global_load_dwordx4 v[68:71], v[52:53], off offset:232
	global_load_dwordx4 v[60:63], v[54:55], off offset:232
	v_add_co_u32 v52, s1, 0xffffffee, v158
	v_add_co_ci_u32_e64 v53, null, 0, -1, s1
	v_cndmask_b32_e32 v52, v52, v172, vcc_lo
	v_cndmask_b32_e32 v53, v53, v173, vcc_lo
	v_lshlrev_b64 v[52:53], 4, v[52:53]
	v_add_co_u32 v52, s1, s2, v52
	v_add_co_ci_u32_e64 v53, s1, s3, v53, s1
	v_add_co_u32 v52, s1, 0x800, v52
	v_add_co_ci_u32_e64 v53, s1, 0, v53, s1
	global_load_dwordx4 v[52:55], v[52:53], off offset:232
	s_waitcnt vmcnt(5) lgkmcnt(6)
	v_mul_f32_e32 v172, v79, v73
	v_mul_f32_e32 v173, v78, v73
	s_waitcnt lgkmcnt(5)
	v_mul_f32_e32 v177, v89, v75
	v_mul_f32_e32 v178, v88, v75
	s_waitcnt vmcnt(4) lgkmcnt(4)
	v_mul_f32_e32 v179, v93, v65
	v_mul_f32_e32 v180, v92, v65
	;; [unrolled: 1-line block ×4, first 2 shown]
	s_waitcnt vmcnt(3)
	v_mul_f32_e32 v183, v95, v57
	s_waitcnt lgkmcnt(2)
	v_mul_f32_e32 v186, v96, v59
	v_fma_f32 v78, v78, v72, -v172
	v_fmac_f32_e32 v173, v79, v72
	v_fma_f32 v79, v88, v74, -v177
	v_fmac_f32_e32 v178, v89, v74
	;; [unrolled: 2-line block ×3, first 2 shown]
	v_fma_f32 v89, v90, v66, -v181
	v_mul_f32_e32 v184, v94, v57
	v_mul_f32_e32 v185, v97, v59
	v_fmac_f32_e32 v182, v91, v66
	v_fma_f32 v90, v94, v56, -v183
	s_waitcnt vmcnt(2) lgkmcnt(1)
	v_mul_f32_e32 v187, v101, v69
	s_waitcnt vmcnt(1)
	v_mul_f32_e32 v191, v103, v61
	v_mul_f32_e32 v192, v102, v61
	s_waitcnt lgkmcnt(0)
	v_mul_f32_e32 v194, v110, v63
	v_mul_f32_e32 v189, v99, v71
	;; [unrolled: 1-line block ×4, first 2 shown]
	v_fmac_f32_e32 v186, v97, v58
	v_fma_f32 v94, v102, v60, -v191
	v_fmac_f32_e32 v192, v103, v60
	v_fmac_f32_e32 v194, v111, v62
	v_add_f32_e32 v97, v78, v79
	v_add_f32_e32 v102, v86, v88
	v_add_f32_e32 v103, v88, v89
	v_add_f32_e32 v111, v87, v180
	v_mul_f32_e32 v188, v100, v69
	v_fmac_f32_e32 v184, v95, v56
	v_fma_f32 v91, v96, v58, -v185
	v_fma_f32 v92, v100, v68, -v187
	;; [unrolled: 1-line block ×3, first 2 shown]
	v_fmac_f32_e32 v190, v99, v70
	v_fma_f32 v95, v110, v62, -v193
	v_add_f32_e32 v96, v84, v78
	v_sub_f32_e32 v98, v173, v178
	v_add_f32_e32 v99, v85, v173
	v_add_f32_e32 v100, v173, v178
	v_sub_f32_e32 v110, v180, v182
	v_add_f32_e32 v172, v180, v182
	v_sub_f32_e32 v173, v88, v89
	v_add_f32_e32 v177, v80, v90
	v_fma_f32 v84, -0.5, v97, v84
	v_add_f32_e32 v88, v102, v89
	s_waitcnt vmcnt(0)
	v_mul_f32_e32 v200, v105, v53
	v_mul_f32_e32 v201, v104, v53
	;; [unrolled: 1-line block ×4, first 2 shown]
	v_fma_f32 v86, -0.5, v103, v86
	v_add_f32_e32 v89, v111, v182
	v_fma_f32 v111, v104, v52, -v200
	v_fmac_f32_e32 v201, v105, v52
	v_fma_f32 v106, v106, v54, -v202
	v_fmac_f32_e32 v203, v107, v54
	v_fmac_f32_e32 v188, v101, v68
	v_sub_f32_e32 v101, v78, v79
	v_add_f32_e32 v179, v90, v91
	v_sub_f32_e32 v180, v184, v186
	v_add_f32_e32 v181, v81, v184
	v_add_f32_e32 v183, v184, v186
	v_sub_f32_e32 v184, v90, v91
	v_add_f32_e32 v78, v96, v79
	v_fma_f32 v85, -0.5, v100, v85
	v_fmac_f32_e32 v87, -0.5, v172
	v_add_f32_e32 v90, v177, v91
	v_fmamk_f32 v96, v98, 0x3f5db3d7, v84
	v_fmac_f32_e32 v84, 0xbf5db3d7, v98
	v_fmamk_f32 v98, v110, 0x3f5db3d7, v86
	v_fmac_f32_e32 v86, 0xbf5db3d7, v110
	v_add_f32_e32 v110, v111, v106
	v_add_f32_e32 v177, v201, v203
	;; [unrolled: 1-line block ×3, first 2 shown]
	v_sub_f32_e32 v189, v188, v190
	v_add_f32_e32 v191, v83, v188
	v_add_f32_e32 v188, v188, v190
	;; [unrolled: 1-line block ×3, first 2 shown]
	v_sub_f32_e32 v197, v192, v194
	v_add_f32_e32 v198, v77, v192
	v_add_f32_e32 v192, v192, v194
	;; [unrolled: 1-line block ×3, first 2 shown]
	v_fma_f32 v80, -0.5, v179, v80
	v_fma_f32 v81, -0.5, v183, v81
	v_fmamk_f32 v97, v101, 0xbf5db3d7, v85
	v_fmamk_f32 v99, v173, 0xbf5db3d7, v87
	v_fmac_f32_e32 v87, 0x3f5db3d7, v173
	v_add_f32_e32 v107, v108, v111
	v_sub_f32_e32 v172, v201, v203
	v_add_f32_e32 v173, v109, v201
	v_sub_f32_e32 v178, v111, v106
	v_fmac_f32_e32 v108, -0.5, v110
	v_fmac_f32_e32 v109, -0.5, v177
	v_add_f32_e32 v185, v82, v92
	v_fmac_f32_e32 v85, 0x3f5db3d7, v101
	v_add_f32_e32 v195, v76, v94
	v_sub_f32_e32 v193, v92, v93
	v_sub_f32_e32 v199, v94, v95
	v_fma_f32 v82, -0.5, v187, v82
	v_fmac_f32_e32 v83, -0.5, v188
	v_fma_f32 v76, -0.5, v196, v76
	v_fmac_f32_e32 v77, -0.5, v192
	v_fmamk_f32 v100, v180, 0x3f5db3d7, v80
	v_fmac_f32_e32 v80, 0xbf5db3d7, v180
	v_fmamk_f32 v101, v184, 0xbf5db3d7, v81
	v_fmac_f32_e32 v81, 0x3f5db3d7, v184
	ds_write_b64 v157, v[96:97] offset:2304
	ds_write_b64 v157, v[84:85] offset:4608
	ds_write2_b64 v157, v[78:79], v[88:89] offset1:54
	v_add_f32_e32 v78, v107, v106
	v_add_f32_e32 v79, v173, v203
	v_fmamk_f32 v110, v172, 0x3f5db3d7, v108
	v_fmac_f32_e32 v108, 0xbf5db3d7, v172
	v_fmamk_f32 v111, v178, 0xbf5db3d7, v109
	v_fmac_f32_e32 v109, 0x3f5db3d7, v178
	v_add_f32_e32 v91, v181, v186
	v_add_f32_e32 v92, v185, v93
	;; [unrolled: 1-line block ×5, first 2 shown]
	v_fmamk_f32 v102, v189, 0x3f5db3d7, v82
	v_fmamk_f32 v103, v193, 0xbf5db3d7, v83
	;; [unrolled: 1-line block ×4, first 2 shown]
	v_fmac_f32_e32 v82, 0xbf5db3d7, v189
	v_fmac_f32_e32 v83, 0x3f5db3d7, v193
	;; [unrolled: 1-line block ×4, first 2 shown]
	ds_write2_b64 v174, v[98:99], v[100:101] offset0:86 offset1:140
	ds_write2_b64 v176, v[86:87], v[80:81] offset0:118 offset1:172
	;; [unrolled: 1-line block ×3, first 2 shown]
	ds_write_b64 v157, v[94:95] offset:1728
	ds_write2_b64 v174, v[102:103], v[104:105] offset0:194 offset1:248
	ds_write2_b64 v175, v[82:83], v[76:77] offset0:98 offset1:152
	s_and_saveexec_b32 s1, vcc_lo
	s_cbranch_execz .LBB0_15
; %bb.14:
	ds_write_b64 v157, v[78:79] offset:2160
	ds_write_b64 v157, v[110:111] offset:4464
	;; [unrolled: 1-line block ×3, first 2 shown]
.LBB0_15:
	s_or_b32 exec_lo, exec_lo, s1
	v_lshlrev_b32_e32 v84, 3, v158
	s_add_u32 s2, s16, 0x1b00
	s_addc_u32 s3, s17, 0
	s_waitcnt lgkmcnt(0)
	s_barrier
	buffer_gl0_inv
	s_clause 0x1
	global_load_dwordx2 v[88:89], v84, s[2:3]
	global_load_dwordx2 v[105:106], v84, s[2:3] offset:432
	v_add_co_u32 v80, s1, s2, v84
	v_add_co_ci_u32_e64 v81, null, s3, 0, s1
	v_add_nc_u32_e32 v96, 0x1000, v157
	v_add_co_u32 v76, s1, 0x1800, v80
	v_add_co_ci_u32_e64 v77, s1, 0, v81, s1
	v_add_co_u32 v82, s1, 0x800, v80
	v_add_co_ci_u32_e64 v83, s1, 0, v81, s1
	s_clause 0x2
	global_load_dwordx2 v[180:181], v[76:77], off offset:192
	global_load_dwordx2 v[182:183], v84, s[2:3] offset:864
	global_load_dwordx2 v[184:185], v[82:83], off offset:256
	v_add_co_u32 v80, s1, 0x1000, v80
	v_add_co_ci_u32_e64 v81, s1, 0, v81, s1
	s_clause 0x9
	global_load_dwordx2 v[186:187], v161, s[2:3]
	global_load_dwordx2 v[188:189], v[82:83], off offset:688
	global_load_dwordx2 v[190:191], v[80:81], off offset:944
	;; [unrolled: 1-line block ×4, first 2 shown]
	global_load_dwordx2 v[196:197], v84, s[2:3] offset:1296
	global_load_dwordx2 v[198:199], v[82:83], off offset:1552
	global_load_dwordx2 v[200:201], v[80:81], off offset:1808
	global_load_dwordx2 v[202:203], v84, s[2:3] offset:1728
	global_load_dwordx2 v[204:205], v[82:83], off offset:1984
	ds_read2_b64 v[84:87], v157 offset1:54
	ds_read_b64 v[206:207], v157 offset:6336
	v_add_nc_u32_e32 v161, 0x800, v157
	v_add_nc_u32_e32 v210, 0xc00, v157
	;; [unrolled: 1-line block ×3, first 2 shown]
	s_waitcnt vmcnt(14) lgkmcnt(1)
	v_mul_f32_e32 v91, v85, v89
	v_mul_f32_e32 v90, v84, v89
	s_waitcnt vmcnt(13)
	v_mul_f32_e32 v107, v86, v106
	v_fma_f32 v89, v84, v88, -v91
	v_fmac_f32_e32 v90, v85, v88
	v_add_nc_u32_e32 v84, 0x400, v157
	v_mul_f32_e32 v85, v87, v106
	v_fmac_f32_e32 v107, v87, v105
	ds_write_b64 v157, v[89:90]
	ds_read2_b64 v[88:91], v84 offset0:88 offset1:160
	ds_read2_b64 v[92:95], v96 offset0:64 offset1:118
	;; [unrolled: 1-line block ×6, first 2 shown]
	s_waitcnt vmcnt(12) lgkmcnt(7)
	v_mul_f32_e32 v208, v207, v181
	v_mul_f32_e32 v209, v206, v181
	v_fma_f32 v106, v86, v105, -v85
	v_fma_f32 v208, v206, v180, -v208
	v_fmac_f32_e32 v209, v207, v180
	s_waitcnt vmcnt(10) lgkmcnt(5)
	v_mul_f32_e32 v85, v91, v185
	v_mul_f32_e32 v86, v90, v185
	s_waitcnt vmcnt(8) lgkmcnt(3)
	v_mul_f32_e32 v206, v98, v189
	v_mul_f32_e32 v185, v97, v189
	s_waitcnt lgkmcnt(2)
	v_mul_f32_e32 v212, v102, v183
	v_mul_f32_e32 v189, v101, v183
	;; [unrolled: 1-line block ×4, first 2 shown]
	s_waitcnt vmcnt(7)
	v_mul_f32_e32 v207, v95, v191
	v_mul_f32_e32 v187, v94, v191
	s_waitcnt vmcnt(5) lgkmcnt(1)
	v_mul_f32_e32 v214, v173, v195
	v_mul_f32_e32 v191, v172, v195
	;; [unrolled: 1-line block ×4, first 2 shown]
	s_waitcnt vmcnt(4)
	v_mul_f32_e32 v193, v103, v197
	s_waitcnt vmcnt(3) lgkmcnt(0)
	v_mul_f32_e32 v216, v177, v199
	v_mul_f32_e32 v105, v176, v199
	;; [unrolled: 1-line block ×3, first 2 shown]
	s_waitcnt vmcnt(2)
	v_mul_f32_e32 v217, v175, v201
	v_mul_f32_e32 v195, v174, v201
	s_waitcnt vmcnt(1)
	v_mul_f32_e32 v201, v89, v203
	v_mul_f32_e32 v197, v88, v203
	;; [unrolled: 3-line block ×3, first 2 shown]
	v_fma_f32 v85, v90, v184, -v85
	v_fmac_f32_e32 v86, v91, v184
	v_fma_f32 v184, v97, v188, -v206
	v_fmac_f32_e32 v185, v98, v188
	;; [unrolled: 2-line block ×7, first 2 shown]
	v_fmac_f32_e32 v193, v104, v196
	v_fma_f32 v104, v176, v198, -v216
	v_fmac_f32_e32 v105, v177, v198
	v_fma_f32 v192, v103, v196, -v215
	v_fma_f32 v196, v88, v202, -v201
	v_fmac_f32_e32 v197, v89, v202
	v_fma_f32 v194, v174, v200, -v217
	v_fmac_f32_e32 v195, v175, v200
	;; [unrolled: 2-line block ×3, first 2 shown]
	ds_write2_b64 v161, v[85:86], v[184:185] offset0:32 offset1:86
	ds_write2_b64 v157, v[106:107], v[188:189] offset0:54 offset1:108
	;; [unrolled: 1-line block ×7, first 2 shown]
	s_and_saveexec_b32 s1, vcc_lo
	s_cbranch_execz .LBB0_17
; %bb.16:
	s_clause 0x2
	global_load_dwordx2 v[82:83], v[82:83], off offset:112
	global_load_dwordx2 v[80:81], v[80:81], off offset:368
	global_load_dwordx2 v[76:77], v[76:77], off offset:624
	ds_read_b64 v[85:86], v157 offset:2160
	ds_read_b64 v[87:88], v157 offset:4464
	;; [unrolled: 1-line block ×3, first 2 shown]
	s_waitcnt vmcnt(2) lgkmcnt(2)
	v_mul_f32_e32 v91, v86, v83
	v_mul_f32_e32 v92, v85, v83
	s_waitcnt vmcnt(1) lgkmcnt(1)
	v_mul_f32_e32 v93, v88, v81
	v_mul_f32_e32 v83, v87, v81
	;; [unrolled: 3-line block ×3, first 2 shown]
	v_fma_f32 v91, v85, v82, -v91
	v_fmac_f32_e32 v92, v86, v82
	v_fma_f32 v82, v87, v80, -v93
	v_fmac_f32_e32 v83, v88, v80
	;; [unrolled: 2-line block ×3, first 2 shown]
	ds_write_b64 v157, v[91:92] offset:2160
	ds_write_b64 v157, v[82:83] offset:4464
	;; [unrolled: 1-line block ×3, first 2 shown]
.LBB0_17:
	s_or_b32 exec_lo, exec_lo, s1
	s_waitcnt lgkmcnt(0)
	s_barrier
	buffer_gl0_inv
	ds_read2_b64 v[92:95], v157 offset1:54
	ds_read2_b64 v[84:87], v84 offset0:88 offset1:160
	ds_read2_b64 v[104:107], v96 offset0:64 offset1:118
	;; [unrolled: 1-line block ×6, first 2 shown]
	ds_read_b64 v[76:77], v157 offset:6336
	s_and_saveexec_b32 s1, vcc_lo
	s_cbranch_execz .LBB0_19
; %bb.18:
	ds_read_b64 v[78:79], v157 offset:2160
	ds_read_b64 v[110:111], v157 offset:4464
	;; [unrolled: 1-line block ×3, first 2 shown]
.LBB0_19:
	s_or_b32 exec_lo, exec_lo, s1
	s_waitcnt lgkmcnt(5)
	v_add_f32_e32 v161, v86, v104
	v_sub_f32_e32 v173, v87, v105
	v_add_f32_e32 v174, v87, v105
	v_add_f32_e32 v87, v93, v87
	;; [unrolled: 1-line block ×3, first 2 shown]
	v_fma_f32 v92, -0.5, v161, v92
	v_sub_f32_e32 v86, v86, v104
	v_fma_f32 v93, -0.5, v174, v93
	v_add_f32_e32 v105, v87, v105
	s_waitcnt lgkmcnt(4)
	v_add_f32_e32 v87, v100, v106
	v_add_f32_e32 v104, v172, v104
	v_fmamk_f32 v172, v173, 0xbf5db3d7, v92
	v_fmac_f32_e32 v92, 0x3f5db3d7, v173
	v_fmamk_f32 v173, v86, 0x3f5db3d7, v93
	v_add_f32_e32 v161, v94, v100
	v_fmac_f32_e32 v93, 0xbf5db3d7, v86
	v_add_f32_e32 v86, v101, v107
	v_fma_f32 v94, -0.5, v87, v94
	v_sub_f32_e32 v87, v101, v107
	v_add_f32_e32 v101, v95, v101
	v_add_f32_e32 v174, v161, v106
	v_fmac_f32_e32 v95, -0.5, v86
	v_sub_f32_e32 v86, v100, v106
	v_fmamk_f32 v100, v87, 0xbf5db3d7, v94
	v_fmac_f32_e32 v94, 0x3f5db3d7, v87
	s_waitcnt lgkmcnt(2)
	v_add_f32_e32 v87, v102, v96
	v_add_f32_e32 v175, v101, v107
	v_fmamk_f32 v101, v86, 0x3f5db3d7, v95
	v_add_f32_e32 v106, v88, v102
	v_fmac_f32_e32 v95, 0xbf5db3d7, v86
	v_add_f32_e32 v86, v103, v97
	v_fma_f32 v88, -0.5, v87, v88
	v_sub_f32_e32 v87, v103, v97
	v_add_f32_e32 v106, v106, v96
	v_add_f32_e32 v103, v89, v103
	v_fma_f32 v89, -0.5, v86, v89
	v_sub_f32_e32 v86, v102, v96
	v_fmamk_f32 v96, v87, 0xbf5db3d7, v88
	v_fmac_f32_e32 v88, 0x3f5db3d7, v87
	s_waitcnt lgkmcnt(1)
	v_add_f32_e32 v87, v80, v98
	v_add_f32_e32 v107, v103, v97
	v_fmamk_f32 v97, v86, 0x3f5db3d7, v89
	v_add_f32_e32 v102, v90, v80
	v_fmac_f32_e32 v89, 0xbf5db3d7, v86
	v_add_f32_e32 v86, v81, v99
	v_fma_f32 v90, -0.5, v87, v90
	v_sub_f32_e32 v87, v81, v99
	v_add_f32_e32 v81, v91, v81
	v_add_f32_e32 v102, v102, v98
	v_fmac_f32_e32 v91, -0.5, v86
	v_sub_f32_e32 v80, v80, v98
	v_fmamk_f32 v98, v87, 0xbf5db3d7, v90
	v_fmac_f32_e32 v90, 0x3f5db3d7, v87
	v_add_f32_e32 v103, v81, v99
	s_waitcnt lgkmcnt(0)
	v_add_f32_e32 v81, v82, v76
	v_add_f32_e32 v86, v84, v82
	;; [unrolled: 1-line block ×3, first 2 shown]
	v_fmamk_f32 v99, v80, 0x3f5db3d7, v91
	v_fmac_f32_e32 v91, 0xbf5db3d7, v80
	v_fma_f32 v84, -0.5, v81, v84
	v_sub_f32_e32 v81, v83, v77
	v_add_f32_e32 v80, v86, v76
	v_add_f32_e32 v83, v85, v83
	v_fmac_f32_e32 v85, -0.5, v87
	v_sub_f32_e32 v76, v82, v76
	v_fmamk_f32 v82, v81, 0xbf5db3d7, v84
	v_fmac_f32_e32 v84, 0x3f5db3d7, v81
	v_add_f32_e32 v81, v83, v77
	v_add_f32_e32 v77, v110, v108
	v_fmamk_f32 v83, v76, 0x3f5db3d7, v85
	v_fmac_f32_e32 v85, 0xbf5db3d7, v76
	v_add_f32_e32 v76, v111, v109
	v_add_f32_e32 v86, v78, v110
	v_fmac_f32_e32 v78, -0.5, v77
	v_sub_f32_e32 v77, v111, v109
	v_add_f32_e32 v87, v79, v111
	v_fmac_f32_e32 v79, -0.5, v76
	v_sub_f32_e32 v110, v110, v108
	v_add_f32_e32 v86, v86, v108
	v_fmamk_f32 v76, v77, 0xbf5db3d7, v78
	v_fmac_f32_e32 v78, 0x3f5db3d7, v77
	v_add_f32_e32 v87, v87, v109
	v_fmamk_f32 v77, v110, 0x3f5db3d7, v79
	v_fmac_f32_e32 v79, 0xbf5db3d7, v110
	s_barrier
	buffer_gl0_inv
	ds_write2_b64 v165, v[104:105], v[172:173] offset1:1
	ds_write_b64 v165, v[92:93] offset:16
	ds_write2_b64 v166, v[174:175], v[100:101] offset1:1
	ds_write_b64 v166, v[94:95] offset:16
	ds_write2_b64 v168, v[106:107], v[96:97] offset1:1
	ds_write_b64 v168, v[88:89] offset:16
	ds_write2_b64 v170, v[102:103], v[98:99] offset1:1
	ds_write_b64 v170, v[90:91] offset:16
	ds_write2_b64 v167, v[80:81], v[82:83] offset1:1
	ds_write_b64 v167, v[84:85] offset:16
	s_and_saveexec_b32 s1, vcc_lo
	s_cbranch_execz .LBB0_21
; %bb.20:
	v_lshlrev_b32_e32 v88, 3, v169
	ds_write2_b64 v88, v[86:87], v[76:77] offset1:1
	ds_write_b64 v88, v[78:79] offset:16
.LBB0_21:
	s_or_b32 exec_lo, exec_lo, s1
	v_add_nc_u32_e32 v92, 0x800, v157
	v_add_nc_u32_e32 v93, 0x1000, v157
	;; [unrolled: 1-line block ×3, first 2 shown]
	s_waitcnt lgkmcnt(0)
	s_barrier
	buffer_gl0_inv
	ds_read2_b64 v[88:91], v157 offset1:54
	ds_read2_b64 v[108:111], v157 offset0:144 offset1:198
	ds_read2_b64 v[104:107], v92 offset0:32 offset1:86
	;; [unrolled: 1-line block ×5, first 2 shown]
	s_and_saveexec_b32 s1, s0
	s_cbranch_execz .LBB0_23
; %bb.22:
	v_add_nc_u32_e32 v80, 0xc00, v157
	ds_read2_b64 v[76:79], v161 offset0:44 offset1:188
	ds_read2_b64 v[84:87], v80 offset0:12 offset1:156
	;; [unrolled: 1-line block ×3, first 2 shown]
.LBB0_23:
	s_or_b32 exec_lo, exec_lo, s1
	s_waitcnt lgkmcnt(4)
	v_mul_f32_e32 v161, v21, v109
	v_mul_f32_e32 v21, v21, v108
	s_waitcnt lgkmcnt(3)
	v_mul_f32_e32 v165, v23, v105
	v_mul_f32_e32 v23, v23, v104
	s_waitcnt lgkmcnt(0)
	v_fmac_f32_e32 v161, v20, v108
	v_fma_f32 v20, v20, v109, -v21
	v_mul_f32_e32 v21, v17, v101
	v_mul_f32_e32 v17, v17, v100
	v_fmac_f32_e32 v165, v22, v104
	v_fma_f32 v22, v22, v105, -v23
	v_mul_f32_e32 v23, v19, v97
	v_fmac_f32_e32 v21, v16, v100
	v_mul_f32_e32 v19, v19, v96
	v_fma_f32 v16, v16, v101, -v17
	v_mul_f32_e32 v17, v154, v93
	v_fmac_f32_e32 v23, v18, v96
	v_mul_f32_e32 v96, v154, v92
	;; [unrolled: 4-line block ×3, first 2 shown]
	v_mul_f32_e32 v92, v15, v107
	v_mul_f32_e32 v15, v15, v106
	v_fmac_f32_e32 v97, v12, v110
	v_fma_f32 v19, v153, v93, -v96
	v_fma_f32 v12, v12, v111, -v13
	v_mul_f32_e32 v13, v9, v103
	v_fmac_f32_e32 v92, v14, v106
	v_mul_f32_e32 v9, v9, v102
	v_fma_f32 v14, v14, v107, -v15
	v_mul_f32_e32 v15, v11, v99
	v_mul_f32_e32 v11, v11, v98
	v_fmac_f32_e32 v13, v8, v102
	v_fma_f32 v93, v8, v103, -v9
	v_mul_f32_e32 v96, v152, v95
	v_fmac_f32_e32 v15, v10, v98
	v_mul_f32_e32 v9, v152, v94
	v_fma_f32 v10, v10, v99, -v11
	v_mul_f32_e32 v8, v5, v83
	v_mul_f32_e32 v11, v5, v82
	v_fmac_f32_e32 v96, v151, v94
	v_fma_f32 v94, v151, v95, -v9
	v_mul_f32_e32 v5, v7, v85
	v_fmac_f32_e32 v8, v4, v82
	v_mul_f32_e32 v9, v7, v84
	v_fma_f32 v7, v4, v83, -v11
	v_mul_f32_e32 v4, v1, v87
	v_mul_f32_e32 v11, v1, v86
	v_mul_f32_e32 v1, v3, v77
	v_fmac_f32_e32 v5, v6, v84
	v_fma_f32 v6, v6, v85, -v9
	v_fmac_f32_e32 v4, v0, v86
	v_mul_f32_e32 v9, v3, v76
	v_fma_f32 v3, v0, v87, -v11
	v_mul_f32_e32 v0, v150, v79
	v_fmac_f32_e32 v1, v2, v76
	v_add_f32_e32 v76, v165, v23
	v_mul_f32_e32 v11, v150, v78
	v_fma_f32 v2, v2, v77, -v9
	v_fmac_f32_e32 v0, v149, v78
	v_sub_f32_e32 v78, v22, v18
	v_fma_f32 v76, -0.5, v76, v88
	v_fma_f32 v9, v149, v79, -v11
	v_add_f32_e32 v11, v22, v18
	v_add_f32_e32 v22, v89, v22
	;; [unrolled: 1-line block ×3, first 2 shown]
	v_fmamk_f32 v79, v78, 0xbf5db3d7, v76
	v_fmac_f32_e32 v76, 0x3f5db3d7, v78
	v_add_f32_e32 v78, v16, v19
	v_add_f32_e32 v83, v22, v18
	;; [unrolled: 1-line block ×4, first 2 shown]
	v_sub_f32_e32 v16, v16, v19
	v_fmac_f32_e32 v20, -0.5, v78
	v_sub_f32_e32 v78, v21, v17
	v_add_f32_e32 v21, v161, v21
	v_fmac_f32_e32 v161, -0.5, v18
	v_add_f32_e32 v77, v77, v23
	v_fma_f32 v11, -0.5, v11, v89
	v_fmamk_f32 v18, v78, 0x3f5db3d7, v20
	v_fmac_f32_e32 v20, 0xbf5db3d7, v78
	v_sub_f32_e32 v23, v165, v23
	v_add_f32_e32 v17, v21, v17
	v_fmamk_f32 v21, v16, 0xbf5db3d7, v161
	v_fmac_f32_e32 v161, 0x3f5db3d7, v16
	v_mul_f32_e32 v16, 0xbf5db3d7, v18
	v_mul_f32_e32 v89, -0.5, v20
	v_fmamk_f32 v85, v23, 0x3f5db3d7, v11
	v_fmac_f32_e32 v11, 0xbf5db3d7, v23
	v_mul_f32_e32 v78, 0xbf5db3d7, v20
	v_add_f32_e32 v87, v22, v19
	v_fmac_f32_e32 v16, 0.5, v21
	v_fmac_f32_e32 v89, 0x3f5db3d7, v161
	v_mul_f32_e32 v88, 0.5, v18
	v_fmac_f32_e32 v78, -0.5, v161
	v_add_f32_e32 v19, v83, v87
	v_add_f32_e32 v20, v79, v16
	;; [unrolled: 1-line block ×3, first 2 shown]
	v_sub_f32_e32 v84, v79, v16
	v_add_f32_e32 v16, v92, v15
	v_sub_f32_e32 v83, v83, v87
	v_sub_f32_e32 v87, v11, v89
	v_add_f32_e32 v11, v91, v14
	v_add_f32_e32 v18, v77, v17
	;; [unrolled: 1-line block ×3, first 2 shown]
	v_sub_f32_e32 v82, v77, v17
	v_sub_f32_e32 v86, v76, v78
	v_add_f32_e32 v17, v90, v92
	v_fma_f32 v16, -0.5, v16, v90
	v_sub_f32_e32 v76, v14, v10
	v_add_f32_e32 v14, v14, v10
	v_add_f32_e32 v11, v11, v10
	;; [unrolled: 1-line block ×4, first 2 shown]
	v_fmamk_f32 v77, v76, 0xbf5db3d7, v16
	v_fmac_f32_e32 v16, 0x3f5db3d7, v76
	v_fmac_f32_e32 v91, -0.5, v14
	v_sub_f32_e32 v14, v92, v15
	v_add_f32_e32 v15, v13, v96
	v_add_f32_e32 v76, v12, v93
	v_fmac_f32_e32 v12, -0.5, v10
	v_sub_f32_e32 v10, v13, v96
	v_add_f32_e32 v13, v97, v13
	v_fmac_f32_e32 v97, -0.5, v15
	v_sub_f32_e32 v15, v93, v94
	v_fmamk_f32 v78, v14, 0x3f5db3d7, v91
	v_fmamk_f32 v79, v10, 0x3f5db3d7, v12
	v_fmac_f32_e32 v91, 0xbf5db3d7, v14
	v_fmac_f32_e32 v12, 0xbf5db3d7, v10
	v_add_f32_e32 v10, v13, v96
	v_fmamk_f32 v13, v15, 0xbf5db3d7, v97
	v_mul_f32_e32 v14, 0xbf5db3d7, v79
	v_fmac_f32_e32 v97, 0x3f5db3d7, v15
	v_mul_f32_e32 v15, 0xbf5db3d7, v12
	v_fmac_f32_e32 v88, 0x3f5db3d7, v21
	v_add_f32_e32 v76, v76, v94
	v_fmac_f32_e32 v14, 0.5, v13
	v_mul_f32_e32 v79, 0.5, v79
	v_fmac_f32_e32 v15, -0.5, v97
	v_add_f32_e32 v21, v85, v88
	v_sub_f32_e32 v85, v85, v88
	v_add_f32_e32 v92, v77, v14
	v_sub_f32_e32 v98, v77, v14
	v_add_f32_e32 v14, v3, v9
	v_mul_f32_e32 v100, -0.5, v12
	v_add_f32_e32 v88, v17, v10
	v_add_f32_e32 v94, v16, v15
	;; [unrolled: 1-line block ×3, first 2 shown]
	v_sub_f32_e32 v96, v17, v10
	v_sub_f32_e32 v90, v16, v15
	v_add_f32_e32 v15, v4, v0
	v_fma_f32 v17, -0.5, v14, v7
	v_sub_f32_e32 v14, v4, v0
	v_fmac_f32_e32 v79, 0x3f5db3d7, v13
	v_fma_f32 v10, -0.5, v12, v80
	v_add_f32_e32 v12, v2, v6
	v_fma_f32 v77, -0.5, v15, v8
	v_sub_f32_e32 v15, v3, v9
	v_fmamk_f32 v16, v14, 0x3f5db3d7, v17
	v_fmac_f32_e32 v17, 0xbf5db3d7, v14
	v_fmac_f32_e32 v100, 0x3f5db3d7, v97
	v_add_f32_e32 v89, v11, v76
	v_add_f32_e32 v93, v78, v79
	v_sub_f32_e32 v13, v6, v2
	v_sub_f32_e32 v97, v11, v76
	;; [unrolled: 1-line block ×3, first 2 shown]
	v_fma_f32 v12, -0.5, v12, v81
	v_sub_f32_e32 v76, v5, v1
	v_fmamk_f32 v78, v15, 0xbf5db3d7, v77
	v_fmac_f32_e32 v77, 0x3f5db3d7, v15
	v_mul_f32_e32 v14, 0xbf5db3d7, v16
	v_mul_f32_e32 v15, 0xbf5db3d7, v17
	v_mul_f32_e32 v16, 0.5, v16
	v_mul_f32_e32 v17, -0.5, v17
	v_fmamk_f32 v11, v13, 0xbf5db3d7, v10
	v_fmac_f32_e32 v10, 0x3f5db3d7, v13
	v_fmamk_f32 v13, v76, 0x3f5db3d7, v12
	v_fmac_f32_e32 v12, 0xbf5db3d7, v76
	v_fmac_f32_e32 v14, 0.5, v78
	v_fmac_f32_e32 v15, -0.5, v77
	v_fmac_f32_e32 v16, 0x3f5db3d7, v78
	v_fmac_f32_e32 v17, 0x3f5db3d7, v77
	v_add_f32_e32 v95, v91, v100
	v_sub_f32_e32 v76, v11, v14
	v_sub_f32_e32 v78, v10, v15
	;; [unrolled: 1-line block ×5, first 2 shown]
	s_barrier
	buffer_gl0_inv
	ds_write2_b64 v164, v[18:19], v[20:21] offset1:3
	ds_write2_b64 v164, v[22:23], v[82:83] offset0:6 offset1:9
	ds_write2_b64 v164, v[84:85], v[86:87] offset0:12 offset1:15
	ds_write2_b64 v163, v[88:89], v[92:93] offset1:3
	ds_write2_b64 v163, v[94:95], v[96:97] offset0:6 offset1:9
	ds_write2_b64 v163, v[98:99], v[90:91] offset0:12 offset1:15
	s_and_saveexec_b32 s1, s0
	s_cbranch_execz .LBB0_25
; %bb.24:
	v_add_f32_e32 v6, v6, v81
	v_add_f32_e32 v3, v3, v7
	;; [unrolled: 1-line block ×7, first 2 shown]
	v_mov_b32_e32 v4, 18
	v_add_f32_e32 v8, v1, v5
	v_add_f32_e32 v3, v12, v17
	v_sub_f32_e32 v1, v2, v6
	v_add_f32_e32 v5, v13, v16
	v_mul_u32_u24_sdwa v12, v160, v4 dst_sel:DWORD dst_unused:UNUSED_PAD src0_sel:WORD_0 src1_sel:DWORD
	v_sub_f32_e32 v0, v8, v9
	v_add_f32_e32 v7, v2, v6
	v_add_f32_e32 v4, v11, v14
	;; [unrolled: 1-line block ×3, first 2 shown]
	v_add_lshl_u32 v8, v12, v162, 3
	v_add_f32_e32 v2, v10, v15
	ds_write2_b64 v8, v[6:7], v[4:5] offset1:3
	ds_write2_b64 v8, v[2:3], v[0:1] offset0:6 offset1:9
	ds_write2_b64 v8, v[76:77], v[78:79] offset0:12 offset1:15
.LBB0_25:
	s_or_b32 exec_lo, exec_lo, s1
	s_waitcnt lgkmcnt(0)
	s_barrier
	buffer_gl0_inv
	ds_read2_b64 v[0:3], v157 offset1:54
	ds_read2_b64 v[4:7], v157 offset0:108 offset1:162
	v_add_nc_u32_e32 v91, 0x400, v157
	v_add_nc_u32_e32 v80, 0x800, v157
	;; [unrolled: 1-line block ×4, first 2 shown]
	ds_read2_b64 v[8:11], v91 offset0:88 offset1:142
	ds_read2_b64 v[12:15], v80 offset0:68 offset1:122
	;; [unrolled: 1-line block ×6, first 2 shown]
	s_waitcnt lgkmcnt(0)
	s_barrier
	buffer_gl0_inv
	v_mul_f32_e32 v92, v49, v3
	v_mul_f32_e32 v93, v51, v5
	;; [unrolled: 1-line block ×6, first 2 shown]
	v_fmac_f32_e32 v93, v50, v4
	v_mul_f32_e32 v4, v43, v9
	v_fmac_f32_e32 v92, v48, v2
	v_fma_f32 v2, v48, v3, -v49
	v_fma_f32 v3, v50, v5, -v51
	v_fmac_f32_e32 v94, v40, v6
	v_mul_f32_e32 v5, v43, v8
	v_fma_f32 v6, v40, v7, -v41
	v_mul_f32_e32 v7, v33, v11
	v_mul_f32_e32 v33, v33, v10
	v_fmac_f32_e32 v4, v42, v8
	v_mul_f32_e32 v8, v35, v13
	v_fma_f32 v5, v42, v9, -v5
	v_fmac_f32_e32 v7, v32, v10
	v_fma_f32 v9, v32, v11, -v33
	v_mul_f32_e32 v10, v35, v12
	v_mul_f32_e32 v11, v25, v15
	v_fmac_f32_e32 v8, v34, v12
	v_mul_f32_e32 v12, v25, v14
	v_mul_f32_e32 v25, v27, v17
	v_fma_f32 v10, v34, v13, -v10
	v_fmac_f32_e32 v11, v24, v14
	v_mul_f32_e32 v13, v27, v16
	v_fma_f32 v12, v24, v15, -v12
	v_mul_f32_e32 v14, v45, v19
	v_mul_f32_e32 v15, v45, v18
	v_fmac_f32_e32 v25, v26, v16
	v_fma_f32 v13, v26, v17, -v13
	v_mul_f32_e32 v17, v47, v20
	v_fmac_f32_e32 v14, v44, v18
	v_fma_f32 v15, v44, v19, -v15
	v_mul_f32_e32 v18, v37, v23
	v_mul_f32_e32 v19, v37, v22
	;; [unrolled: 1-line block ×3, first 2 shown]
	v_fma_f32 v17, v46, v21, -v17
	v_mul_f32_e32 v21, v39, v83
	v_fmac_f32_e32 v18, v36, v22
	v_mul_f32_e32 v22, v29, v86
	v_fma_f32 v19, v36, v23, -v19
	v_mul_f32_e32 v23, v29, v85
	v_mul_f32_e32 v26, v31, v87
	v_fmac_f32_e32 v16, v46, v20
	v_mul_f32_e32 v20, v39, v84
	v_fma_f32 v21, v38, v84, -v21
	v_fmac_f32_e32 v22, v28, v85
	v_mul_f32_e32 v24, v31, v88
	v_fma_f32 v23, v28, v86, -v23
	v_mul_f32_e32 v28, v156, v89
	v_fma_f32 v26, v30, v88, -v26
	v_fmac_f32_e32 v20, v38, v83
	v_mul_f32_e32 v27, v156, v90
	v_fmac_f32_e32 v24, v30, v87
	v_fma_f32 v28, v155, v90, -v28
	v_sub_f32_e32 v13, v1, v13
	v_sub_f32_e32 v21, v5, v21
	;; [unrolled: 1-line block ×5, first 2 shown]
	v_fmac_f32_e32 v27, v155, v89
	v_sub_f32_e32 v20, v4, v20
	v_sub_f32_e32 v16, v93, v16
	v_fma_f32 v1, v1, 2.0, -v13
	v_fma_f32 v5, v5, 2.0, -v21
	v_sub_f32_e32 v24, v8, v24
	v_fma_f32 v3, v3, 2.0, -v17
	v_sub_f32_e32 v14, v92, v14
	;; [unrolled: 2-line block ×3, first 2 shown]
	v_sub_f32_e32 v18, v94, v18
	v_sub_f32_e32 v28, v12, v28
	v_fma_f32 v4, v4, 2.0, -v20
	v_sub_f32_e32 v15, v2, v15
	v_fma_f32 v8, v8, 2.0, -v24
	v_sub_f32_e32 v22, v7, v22
	v_sub_f32_e32 v19, v6, v19
	;; [unrolled: 1-line block ×3, first 2 shown]
	v_fma_f32 v9, v9, 2.0, -v23
	v_sub_f32_e32 v5, v1, v5
	v_fma_f32 v12, v12, 2.0, -v28
	v_add_f32_e32 v21, v25, v21
	v_sub_f32_e32 v20, v13, v20
	v_sub_f32_e32 v10, v3, v10
	v_add_f32_e32 v26, v16, v26
	v_sub_f32_e32 v24, v17, v24
	v_add_f32_e32 v23, v14, v23
	v_add_f32_e32 v28, v18, v28
	v_fma_f32 v0, v0, 2.0, -v25
	v_fma_f32 v29, v93, 2.0, -v16
	;; [unrolled: 1-line block ×12, first 2 shown]
	v_sub_f32_e32 v22, v15, v22
	v_fma_f32 v14, v14, 2.0, -v23
	v_sub_f32_e32 v27, v19, v27
	v_fma_f32 v18, v18, 2.0, -v28
	v_fmamk_f32 v38, v24, 0x3f3504f3, v20
	v_sub_f32_e32 v4, v0, v4
	v_sub_f32_e32 v8, v29, v8
	v_fma_f32 v13, v13, 2.0, -v20
	v_sub_f32_e32 v7, v30, v7
	v_sub_f32_e32 v9, v2, v9
	v_fma_f32 v17, v17, 2.0, -v24
	v_sub_f32_e32 v11, v31, v11
	v_sub_f32_e32 v12, v6, v12
	v_fma_f32 v15, v15, 2.0, -v22
	v_fmamk_f32 v32, v16, 0xbf3504f3, v25
	v_sub_f32_e32 v33, v1, v3
	v_fma_f32 v3, v19, 2.0, -v27
	v_fmamk_f32 v35, v26, 0x3f3504f3, v21
	v_fmac_f32_e32 v38, 0xbf3504f3, v26
	v_fmamk_f32 v26, v18, 0xbf3504f3, v14
	v_fma_f32 v0, v0, 2.0, -v4
	v_fma_f32 v29, v29, 2.0, -v8
	v_fma_f32 v30, v30, 2.0, -v7
	v_fma_f32 v2, v2, 2.0, -v9
	v_fma_f32 v31, v31, 2.0, -v11
	v_fma_f32 v6, v6, 2.0, -v12
	v_fmamk_f32 v34, v17, 0xbf3504f3, v13
	v_fmac_f32_e32 v32, 0x3f3504f3, v17
	v_fmamk_f32 v40, v3, 0xbf3504f3, v15
	v_fmac_f32_e32 v26, 0x3f3504f3, v3
	v_sub_f32_e32 v29, v0, v29
	v_fmac_f32_e32 v34, 0xbf3504f3, v16
	v_fma_f32 v16, v25, 2.0, -v32
	v_add_f32_e32 v36, v4, v10
	v_sub_f32_e32 v37, v5, v8
	v_sub_f32_e32 v31, v30, v31
	v_sub_f32_e32 v39, v2, v6
	v_fmac_f32_e32 v40, 0xbf3504f3, v18
	v_fma_f32 v8, v14, 2.0, -v26
	v_add_f32_e32 v41, v7, v12
	v_fmamk_f32 v43, v27, 0x3f3504f3, v22
	v_fma_f32 v17, v0, 2.0, -v29
	v_fma_f32 v19, v1, 2.0, -v33
	;; [unrolled: 1-line block ×3, first 2 shown]
	v_fmac_f32_e32 v35, 0x3f3504f3, v24
	v_fma_f32 v24, v4, 2.0, -v36
	v_fma_f32 v0, v30, 2.0, -v31
	;; [unrolled: 1-line block ×3, first 2 shown]
	v_fmamk_f32 v30, v28, 0x3f3504f3, v23
	v_sub_f32_e32 v42, v9, v11
	v_fma_f32 v6, v15, 2.0, -v40
	v_fma_f32 v11, v7, 2.0, -v41
	v_fmac_f32_e32 v43, 0xbf3504f3, v28
	v_fmamk_f32 v2, v8, 0xbf6c835e, v16
	v_fma_f32 v25, v5, 2.0, -v37
	v_fma_f32 v20, v20, 2.0, -v38
	v_fmac_f32_e32 v30, 0x3f3504f3, v27
	v_fma_f32 v9, v9, 2.0, -v42
	v_fma_f32 v12, v22, 2.0, -v43
	v_fmamk_f32 v3, v6, 0xbf6c835e, v13
	v_fmac_f32_e32 v2, 0x3ec3ef15, v6
	v_fmamk_f32 v6, v11, 0xbf3504f3, v24
	v_fma_f32 v14, v23, 2.0, -v30
	v_fmamk_f32 v7, v9, 0xbf3504f3, v25
	v_fma_f32 v21, v21, 2.0, -v35
	v_fma_f32 v10, v16, 2.0, -v2
	v_fmac_f32_e32 v6, 0x3f3504f3, v9
	v_fmamk_f32 v9, v12, 0xbec3ef15, v20
	v_add_f32_e32 v16, v29, v39
	v_sub_f32_e32 v1, v19, v1
	v_fmac_f32_e32 v3, 0xbec3ef15, v8
	v_fmamk_f32 v8, v14, 0xbec3ef15, v21
	v_fmac_f32_e32 v9, 0xbf6c835e, v14
	v_fmamk_f32 v22, v41, 0x3f3504f3, v36
	v_fmamk_f32 v23, v42, 0x3f3504f3, v37
	;; [unrolled: 1-line block ×3, first 2 shown]
	v_sub_f32_e32 v0, v17, v0
	v_fma_f32 v15, v20, 2.0, -v9
	v_fma_f32 v20, v29, 2.0, -v16
	v_fmamk_f32 v29, v43, 0x3f6c835e, v38
	v_fma_f32 v5, v19, 2.0, -v1
	v_fmamk_f32 v18, v26, 0x3ec3ef15, v32
	v_fmamk_f32 v19, v40, 0x3ec3ef15, v34
	v_fmac_f32_e32 v7, 0xbf3504f3, v11
	v_fmac_f32_e32 v8, 0x3f6c835e, v12
	;; [unrolled: 1-line block ×6, first 2 shown]
	v_fma_f32 v4, v17, 2.0, -v0
	v_sub_f32_e32 v17, v33, v31
	v_fmac_f32_e32 v18, 0x3f6c835e, v40
	v_fmac_f32_e32 v19, 0xbf6c835e, v26
	v_fma_f32 v11, v13, 2.0, -v3
	v_fma_f32 v12, v24, 2.0, -v6
	;; [unrolled: 1-line block ×11, first 2 shown]
	ds_write2_b64 v171, v[4:5], v[10:11] offset1:18
	ds_write2_b64 v171, v[12:13], v[14:15] offset0:36 offset1:54
	ds_write2_b64 v171, v[20:21], v[24:25] offset0:72 offset1:90
	v_add_nc_u32_e32 v4, 0x400, v171
	ds_write2_b64 v171, v[26:27], v[30:31] offset0:108 offset1:126
	ds_write2_b64 v171, v[0:1], v[2:3] offset0:144 offset1:162
	;; [unrolled: 1-line block ×5, first 2 shown]
	s_waitcnt lgkmcnt(0)
	s_barrier
	buffer_gl0_inv
	ds_read2_b64 v[8:11], v157 offset1:54
	ds_read2_b64 v[0:3], v91 offset0:88 offset1:160
	ds_read2_b64 v[24:27], v82 offset0:64 offset1:118
	;; [unrolled: 1-line block ×6, first 2 shown]
	ds_read_b64 v[30:31], v157 offset:6336
	s_and_saveexec_b32 s0, vcc_lo
	s_cbranch_execz .LBB0_27
; %bb.26:
	ds_read_b64 v[28:29], v157 offset:2160
	ds_read_b64 v[76:77], v157 offset:4464
	;; [unrolled: 1-line block ×3, first 2 shown]
.LBB0_27:
	s_or_b32 exec_lo, exec_lo, s0
	s_waitcnt lgkmcnt(6)
	v_mul_f32_e32 v33, v73, v2
	v_mul_f32_e32 v32, v73, v3
	s_waitcnt lgkmcnt(5)
	v_mul_f32_e32 v34, v75, v25
	v_mul_f32_e32 v35, v75, v24
	s_waitcnt lgkmcnt(1)
	v_mul_f32_e32 v38, v61, v15
	v_fma_f32 v3, v72, v3, -v33
	v_mul_f32_e32 v33, v65, v21
	v_fmac_f32_e32 v32, v72, v2
	v_mul_f32_e32 v2, v65, v20
	v_fmac_f32_e32 v34, v74, v24
	v_fma_f32 v24, v74, v25, -v35
	v_fmac_f32_e32 v33, v64, v20
	v_mul_f32_e32 v20, v67, v26
	v_mul_f32_e32 v25, v67, v27
	v_fma_f32 v21, v64, v21, -v2
	v_mul_f32_e32 v2, v57, v22
	v_mul_f32_e32 v35, v57, v23
	v_fma_f32 v20, v66, v27, -v20
	v_mul_f32_e32 v27, v69, v13
	s_waitcnt lgkmcnt(0)
	v_mul_f32_e32 v40, v63, v31
	v_fma_f32 v23, v56, v23, -v2
	v_mul_f32_e32 v2, v69, v12
	v_fmac_f32_e32 v25, v66, v26
	v_fmac_f32_e32 v27, v68, v12
	v_mul_f32_e32 v12, v71, v18
	v_fmac_f32_e32 v38, v60, v14
	v_fma_f32 v37, v68, v13, -v2
	v_mul_f32_e32 v2, v61, v14
	v_add_f32_e32 v13, v8, v32
	v_fma_f32 v39, v70, v19, -v12
	v_mul_f32_e32 v12, v63, v30
	v_sub_f32_e32 v14, v3, v24
	v_fma_f32 v41, v60, v15, -v2
	v_add_f32_e32 v2, v32, v34
	v_sub_f32_e32 v15, v32, v34
	v_fma_f32 v31, v62, v31, -v12
	v_add_f32_e32 v12, v3, v24
	v_mul_f32_e32 v26, v59, v17
	v_fma_f32 v2, -0.5, v2, v8
	v_add_f32_e32 v8, v13, v34
	v_add_f32_e32 v13, v9, v3
	v_fma_f32 v3, -0.5, v12, v9
	v_fmac_f32_e32 v35, v56, v22
	v_mul_f32_e32 v22, v59, v16
	v_mul_f32_e32 v36, v71, v19
	v_fmamk_f32 v12, v14, 0xbf5db3d7, v2
	v_fmac_f32_e32 v2, 0x3f5db3d7, v14
	v_add_f32_e32 v9, v13, v24
	v_add_f32_e32 v14, v33, v25
	v_fmamk_f32 v13, v15, 0x3f5db3d7, v3
	v_fmac_f32_e32 v3, 0xbf5db3d7, v15
	v_add_f32_e32 v15, v21, v20
	v_fmac_f32_e32 v26, v58, v16
	v_fma_f32 v22, v58, v17, -v22
	v_fmac_f32_e32 v36, v70, v18
	v_add_f32_e32 v16, v10, v33
	v_fma_f32 v10, -0.5, v14, v10
	v_sub_f32_e32 v17, v21, v20
	v_add_f32_e32 v18, v11, v21
	v_fmac_f32_e32 v11, -0.5, v15
	v_sub_f32_e32 v19, v33, v25
	v_add_f32_e32 v14, v16, v25
	v_fmamk_f32 v16, v17, 0xbf5db3d7, v10
	v_fmac_f32_e32 v10, 0x3f5db3d7, v17
	v_add_f32_e32 v15, v18, v20
	v_add_f32_e32 v18, v35, v26
	v_fmamk_f32 v17, v19, 0x3f5db3d7, v11
	v_fmac_f32_e32 v11, 0xbf5db3d7, v19
	v_add_f32_e32 v19, v23, v22
	v_add_f32_e32 v20, v4, v35
	v_fma_f32 v4, -0.5, v18, v4
	v_sub_f32_e32 v21, v23, v22
	v_add_f32_e32 v23, v5, v23
	v_fma_f32 v5, -0.5, v19, v5
	v_sub_f32_e32 v24, v35, v26
	v_add_f32_e32 v18, v20, v26
	v_fmamk_f32 v20, v21, 0xbf5db3d7, v4
	v_fmac_f32_e32 v4, 0x3f5db3d7, v21
	v_add_f32_e32 v19, v23, v22
	v_add_f32_e32 v22, v27, v36
	v_fmamk_f32 v21, v24, 0x3f5db3d7, v5
	v_add_f32_e32 v23, v6, v27
	v_fmac_f32_e32 v5, 0xbf5db3d7, v24
	v_add_f32_e32 v24, v37, v39
	v_fmac_f32_e32 v40, v62, v30
	v_fma_f32 v6, -0.5, v22, v6
	v_sub_f32_e32 v25, v37, v39
	v_add_f32_e32 v22, v23, v36
	v_add_f32_e32 v23, v7, v37
	v_fmac_f32_e32 v7, -0.5, v24
	v_sub_f32_e32 v26, v27, v36
	v_fmamk_f32 v24, v25, 0xbf5db3d7, v6
	v_fmac_f32_e32 v6, 0x3f5db3d7, v25
	v_add_f32_e32 v27, v38, v40
	v_add_f32_e32 v30, v0, v38
	v_fmamk_f32 v25, v26, 0x3f5db3d7, v7
	v_fmac_f32_e32 v7, 0xbf5db3d7, v26
	v_add_f32_e32 v26, v41, v31
	v_fma_f32 v0, -0.5, v27, v0
	v_sub_f32_e32 v27, v41, v31
	v_add_f32_e32 v32, v1, v41
	v_sub_f32_e32 v33, v38, v40
	v_fmac_f32_e32 v1, -0.5, v26
	v_add_f32_e32 v23, v23, v39
	v_add_f32_e32 v26, v30, v40
	v_fmamk_f32 v30, v27, 0xbf5db3d7, v0
	v_fmac_f32_e32 v0, 0x3f5db3d7, v27
	v_add_f32_e32 v27, v32, v31
	v_fmamk_f32 v31, v33, 0x3f5db3d7, v1
	v_fmac_f32_e32 v1, 0xbf5db3d7, v33
	ds_write_b64 v157, v[12:13] offset:2304
	ds_write_b64 v157, v[2:3] offset:4608
	ds_write2_b64 v157, v[8:9], v[14:15] offset1:54
	ds_write2_b64 v80, v[16:17], v[20:21] offset0:86 offset1:140
	ds_write2_b64 v82, v[10:11], v[4:5] offset0:118 offset1:172
	;; [unrolled: 1-line block ×3, first 2 shown]
	ds_write_b64 v157, v[26:27] offset:1728
	ds_write2_b64 v80, v[24:25], v[30:31] offset0:194 offset1:248
	ds_write2_b64 v81, v[6:7], v[0:1] offset0:98 offset1:152
	s_and_saveexec_b32 s0, vcc_lo
	s_cbranch_execz .LBB0_29
; %bb.28:
	v_mul_f32_e32 v0, v53, v76
	v_mul_f32_e32 v1, v55, v78
	;; [unrolled: 1-line block ×4, first 2 shown]
	v_fma_f32 v0, v52, v77, -v0
	v_fma_f32 v3, v54, v79, -v1
	v_fmac_f32_e32 v2, v52, v76
	v_fmac_f32_e32 v4, v54, v78
	v_add_f32_e32 v7, v29, v0
	v_add_f32_e32 v1, v0, v3
	v_sub_f32_e32 v8, v0, v3
	v_add_f32_e32 v5, v2, v4
	v_sub_f32_e32 v6, v2, v4
	v_add_f32_e32 v2, v28, v2
	v_fma_f32 v1, -0.5, v1, v29
	v_add_f32_e32 v3, v7, v3
	v_fma_f32 v0, -0.5, v5, v28
	v_add_f32_e32 v2, v2, v4
	v_fmamk_f32 v5, v6, 0xbf5db3d7, v1
	v_fmac_f32_e32 v1, 0x3f5db3d7, v6
	v_fmamk_f32 v4, v8, 0x3f5db3d7, v0
	v_fmac_f32_e32 v0, 0xbf5db3d7, v8
	ds_write_b64 v157, v[2:3] offset:2160
	ds_write_b64 v157, v[0:1] offset:4464
	ds_write_b64 v157, v[4:5] offset:6768
.LBB0_29:
	s_or_b32 exec_lo, exec_lo, s0
	s_waitcnt lgkmcnt(0)
	s_barrier
	buffer_gl0_inv
	ds_read2_b64 v[0:3], v157 offset1:54
	v_add_nc_u32_e32 v4, 0x400, v157
	v_add_nc_u32_e32 v37, 0x1000, v157
	s_mov_b32 s2, 0xbda12f68
	v_add_nc_u32_e32 v38, 0x800, v157
	s_mov_b32 s3, 0x3f52f684
	ds_read2_b64 v[4:7], v4 offset0:88 offset1:160
	ds_read2_b64 v[8:11], v37 offset0:64 offset1:118
	v_mad_u64_u32 v[20:21], null, s10, v120, 0
	v_mad_u64_u32 v[22:23], null, s8, v158, 0
	;; [unrolled: 1-line block ×3, first 2 shown]
	s_mul_i32 s1, s9, 0x120
	s_mul_hi_u32 s4, s8, 0x120
	s_mul_i32 s0, s8, 0x120
	s_add_i32 s1, s4, s1
	v_mad_u64_u32 v[28:29], null, s11, v120, v[21:22]
	s_waitcnt lgkmcnt(2)
	v_mul_f32_e32 v12, v140, v0
	v_mul_f32_e32 v16, v140, v1
	v_mad_u64_u32 v[29:30], null, s9, v158, v[23:24]
	v_mul_f32_e32 v33, v134, v3
	v_fma_f32 v17, v139, v1, -v12
	v_fmac_f32_e32 v16, v139, v0
	s_waitcnt lgkmcnt(1)
	v_mul_f32_e32 v21, v148, v7
	v_mul_f32_e32 v23, v148, v6
	s_waitcnt lgkmcnt(0)
	v_mul_f32_e32 v32, v142, v9
	v_cvt_f64_f32_e32 v[26:27], v17
	v_cvt_f64_f32_e32 v[0:1], v16
	ds_read2_b64 v[16:19], v38 offset0:86 offset1:140
	v_mul_f32_e32 v30, v142, v8
	v_fmac_f32_e32 v21, v147, v6
	v_fma_f32 v23, v147, v7, -v23
	v_mul_f32_e32 v34, v134, v2
	v_fmac_f32_e32 v32, v141, v8
	v_fma_f32 v35, v141, v9, -v30
	v_cvt_f64_f32_e32 v[6:7], v21
	v_cvt_f64_f32_e32 v[8:9], v23
	v_fmac_f32_e32 v33, v133, v2
	v_fma_f32 v23, v133, v3, -v34
	v_mov_b32_e32 v21, v28
	v_cvt_f64_f32_e32 v[2:3], v32
	ds_read2_b64 v[12:15], v157 offset0:108 offset1:162
	v_cvt_f64_f32_e32 v[33:34], v33
	v_mul_f32_e32 v40, v144, v10
	v_lshlrev_b64 v[20:21], 3, v[20:21]
	s_lshl_b64 s[4:5], s[0:1], 3
	s_mul_i32 s1, s9, 0xfffffdf6
	v_mul_f64 v[26:27], v[26:27], s[2:3]
	v_mul_f64 v[0:1], v[0:1], s[2:3]
	s_waitcnt lgkmcnt(1)
	v_mul_f32_e32 v39, v146, v16
	v_fma_f32 v28, v145, v17, -v39
	v_mul_f32_e32 v39, v144, v11
	v_mul_f64 v[6:7], v[6:7], s[2:3]
	v_mul_f64 v[8:9], v[8:9], s[2:3]
	v_fmac_f32_e32 v39, v143, v10
	v_mul_f64 v[2:3], v[2:3], s[2:3]
	v_mad_u64_u32 v[30:31], null, s9, v159, v[25:26]
	v_mul_f32_e32 v25, v146, v17
	v_cvt_f64_f32_e32 v[31:32], v35
	v_cvt_f64_f32_e32 v[35:36], v23
	v_mov_b32_e32 v23, v29
	v_cvt_f64_f32_e32 v[28:29], v28
	v_fmac_f32_e32 v25, v145, v16
	v_cvt_f32_f64_e32 v0, v[0:1]
	v_cvt_f32_f64_e32 v1, v[26:27]
	v_lshlrev_b64 v[22:23], 3, v[22:23]
	v_cvt_f32_f64_e32 v6, v[6:7]
	v_cvt_f64_f32_e32 v[16:17], v25
	v_fma_f32 v25, v143, v11, -v40
	v_add_co_u32 v40, s0, s6, v20
	v_add_co_ci_u32_e64 v41, s0, s7, v21, s0
	v_mul_f64 v[20:21], v[33:34], s[2:3]
	v_add_co_u32 v22, s0, v40, v22
	v_add_co_ci_u32_e64 v23, s0, v41, v23, s0
	v_cvt_f32_f64_e32 v7, v[8:9]
	v_add_co_u32 v8, s0, v22, s4
	v_mul_f64 v[10:11], v[31:32], s[2:3]
	v_mul_f64 v[31:32], v[35:36], s[2:3]
	;; [unrolled: 1-line block ×3, first 2 shown]
	v_cvt_f64_f32_e32 v[26:27], v39
	v_add_co_ci_u32_e64 v9, s0, s5, v23, s0
	global_store_dwordx2 v[22:23], v[0:1], off
	s_waitcnt lgkmcnt(0)
	v_mul_f32_e32 v0, v132, v13
	v_mul_f64 v[16:17], v[16:17], s[2:3]
	v_mul_f32_e32 v1, v132, v12
	v_cvt_f32_f64_e32 v22, v[2:3]
	v_cvt_f64_f32_e32 v[33:34], v25
	v_fmac_f32_e32 v0, v131, v12
	v_mov_b32_e32 v25, v30
	v_fma_f32 v1, v131, v13, -v1
	v_mad_u64_u32 v[12:13], null, 0xfffff8b0, s8, v[8:9]
	s_mul_i32 s0, s9, 0xfffff8b0
	v_lshlrev_b64 v[24:25], 3, v[24:25]
	s_sub_i32 s0, s0, s8
	global_store_dwordx2 v[8:9], v[6:7], off
	v_cvt_f32_f64_e32 v23, v[10:11]
	v_cvt_f32_f64_e32 v10, v[20:21]
	;; [unrolled: 1-line block ×3, first 2 shown]
	v_cvt_f64_f32_e32 v[20:21], v0
	v_add_nc_u32_e32 v13, s0, v13
	v_add_co_u32 v8, s0, v40, v24
	v_add_co_ci_u32_e64 v9, s0, v41, v25, s0
	v_cvt_f32_f64_e32 v16, v[16:17]
	v_cvt_f32_f64_e32 v17, v[28:29]
	v_cvt_f64_f32_e32 v[28:29], v1
	ds_read2_b64 v[0:3], v37 offset0:172 offset1:226
	v_add_co_u32 v24, s0, v12, s4
	v_add_co_ci_u32_e64 v25, s0, s5, v13, s0
	v_mul_f64 v[26:27], v[26:27], s[2:3]
	v_mul_f64 v[6:7], v[33:34], s[2:3]
	v_mul_f32_e32 v34, v119, v5
	global_store_dwordx2 v[8:9], v[22:23], off
	v_add_co_u32 v22, s0, v24, s4
	v_mul_f64 v[8:9], v[20:21], s[2:3]
	global_store_dwordx2 v[12:13], v[10:11], off
	global_store_dwordx2 v[24:25], v[16:17], off
	v_mul_f32_e32 v16, v136, v19
	v_mul_f32_e32 v13, v136, v18
	s_waitcnt lgkmcnt(0)
	v_mul_f32_e32 v20, v138, v1
	v_mul_f32_e32 v17, v138, v0
	v_mul_f64 v[10:11], v[28:29], s[2:3]
	v_fmac_f32_e32 v16, v135, v18
	v_fma_f32 v18, v135, v19, -v13
	v_fmac_f32_e32 v20, v137, v0
	v_fma_f32 v21, v137, v1, -v17
	v_cvt_f32_f64_e32 v12, v[26:27]
	v_cvt_f64_f32_e32 v[0:1], v16
	v_cvt_f64_f32_e32 v[16:17], v18
	;; [unrolled: 1-line block ×4, first 2 shown]
	v_mul_f32_e32 v26, v126, v15
	v_cvt_f32_f64_e32 v13, v[6:7]
	v_cvt_f32_f64_e32 v24, v[8:9]
	ds_read2_b64 v[6:9], v38 offset0:194 offset1:248
	v_mul_f32_e32 v27, v126, v14
	v_fmac_f32_e32 v26, v125, v14
	v_mul_f32_e32 v32, v124, v3
	v_mul_f32_e32 v33, v124, v2
	v_add_co_ci_u32_e64 v23, s0, s5, v25, s0
	v_fma_f32 v28, v125, v15, -v27
	v_fmac_f32_e32 v34, v118, v4
	v_cvt_f32_f64_e32 v25, v[10:11]
	v_mul_f32_e32 v4, v119, v4
	v_fmac_f32_e32 v32, v123, v2
	v_cvt_f64_f32_e32 v[28:29], v28
	v_fma_f32 v33, v123, v3, -v33
	s_mul_hi_u32 s0, s8, 0xfffffdf6
	v_mul_f64 v[0:1], v[0:1], s[2:3]
	v_mul_f64 v[16:17], v[16:17], s[2:3]
	;; [unrolled: 1-line block ×4, first 2 shown]
	v_cvt_f64_f32_e32 v[20:21], v26
	ds_read_b64 v[26:27], v157 offset:6336
	s_waitcnt lgkmcnt(1)
	v_mul_f32_e32 v30, v122, v7
	v_mul_f32_e32 v31, v122, v6
	;; [unrolled: 1-line block ×4, first 2 shown]
	v_fma_f32 v4, v118, v5, -v4
	v_fmac_f32_e32 v30, v121, v6
	v_fma_f32 v6, v121, v7, -v31
	v_fmac_f32_e32 v36, v127, v8
	v_fma_f32 v37, v127, v9, -v37
	s_sub_i32 s0, s0, s8
	v_cvt_f64_f32_e32 v[2:3], v30
	v_cvt_f64_f32_e32 v[6:7], v6
	;; [unrolled: 1-line block ×5, first 2 shown]
	s_add_i32 s1, s0, s1
	s_mul_i32 s0, s8, 0xfffffdf6
	v_cvt_f64_f32_e32 v[4:5], v4
	v_cvt_f64_f32_e32 v[8:9], v36
	s_waitcnt lgkmcnt(0)
	v_mul_f32_e32 v38, v130, v27
	v_mul_f32_e32 v39, v130, v26
	s_lshl_b64 s[6:7], s[0:1], 3
	v_cvt_f32_f64_e32 v0, v[0:1]
	v_add_co_u32 v10, s0, v22, s6
	v_fmac_f32_e32 v38, v129, v26
	v_fma_f32 v39, v129, v27, -v39
	v_cvt_f64_f32_e32 v[26:27], v37
	v_add_co_ci_u32_e64 v11, s0, s7, v23, s0
	v_cvt_f64_f32_e32 v[36:37], v38
	v_cvt_f64_f32_e32 v[38:39], v39
	global_store_dwordx2 v[22:23], v[12:13], off
	global_store_dwordx2 v[10:11], v[24:25], off
	v_cvt_f32_f64_e32 v1, v[16:17]
	v_mul_f64 v[12:13], v[20:21], s[2:3]
	v_mul_f64 v[16:17], v[28:29], s[2:3]
	;; [unrolled: 1-line block ×4, first 2 shown]
	v_cvt_f32_f64_e32 v14, v[14:15]
	v_cvt_f32_f64_e32 v15, v[18:19]
	v_mul_f64 v[18:19], v[30:31], s[2:3]
	v_mul_f64 v[20:21], v[32:33], s[2:3]
	;; [unrolled: 1-line block ×3, first 2 shown]
	v_add_co_u32 v10, s0, v10, s4
	v_mul_f64 v[4:5], v[4:5], s[2:3]
	v_mul_f64 v[8:9], v[8:9], s[2:3]
	v_add_co_ci_u32_e64 v11, s0, s5, v11, s0
	v_mul_f64 v[24:25], v[26:27], s[2:3]
	v_add_co_u32 v30, s0, v10, s4
	v_mul_f64 v[26:27], v[36:37], s[2:3]
	v_mul_f64 v[28:29], v[38:39], s[2:3]
	v_add_co_ci_u32_e64 v31, s0, s5, v11, s0
	v_cvt_f32_f64_e32 v12, v[12:13]
	v_cvt_f32_f64_e32 v13, v[16:17]
	v_add_co_u32 v16, s0, v30, s6
	v_add_co_ci_u32_e64 v17, s0, s7, v31, s0
	v_cvt_f32_f64_e32 v2, v[2:3]
	v_cvt_f32_f64_e32 v3, v[6:7]
	v_add_co_u32 v6, s0, v16, s4
	v_add_co_ci_u32_e64 v7, s0, s5, v17, s0
	v_cvt_f32_f64_e32 v18, v[18:19]
	v_cvt_f32_f64_e32 v19, v[20:21]
	;; [unrolled: 1-line block ×3, first 2 shown]
	v_add_co_u32 v22, s0, v6, s4
	v_cvt_f32_f64_e32 v21, v[4:5]
	v_add_co_ci_u32_e64 v23, s0, s5, v7, s0
	v_cvt_f32_f64_e32 v4, v[8:9]
	v_cvt_f32_f64_e32 v5, v[24:25]
	;; [unrolled: 1-line block ×4, first 2 shown]
	global_store_dwordx2 v[10:11], v[0:1], off
	v_add_co_u32 v10, s0, v22, s6
	v_add_co_ci_u32_e64 v11, s0, s7, v23, s0
	global_store_dwordx2 v[30:31], v[14:15], off
	v_add_co_u32 v14, s0, v10, s4
	v_add_co_ci_u32_e64 v15, s0, s5, v11, s0
	;; [unrolled: 3-line block ×3, first 2 shown]
	global_store_dwordx2 v[6:7], v[2:3], off
	global_store_dwordx2 v[22:23], v[18:19], off
	;; [unrolled: 1-line block ×5, first 2 shown]
	s_and_b32 exec_lo, exec_lo, vcc_lo
	s_cbranch_execz .LBB0_31
; %bb.30:
	global_load_dwordx2 v[2:3], v[116:117], off offset:112
	ds_read_b64 v[4:5], v157 offset:2160
	ds_read_b64 v[6:7], v157 offset:4464
	ds_read_b64 v[8:9], v157 offset:6768
	v_add_co_u32 v0, vcc_lo, v0, s6
	v_add_co_ci_u32_e32 v1, vcc_lo, s7, v1, vcc_lo
	s_waitcnt vmcnt(0) lgkmcnt(2)
	v_mul_f32_e32 v10, v5, v3
	v_mul_f32_e32 v3, v4, v3
	v_fmac_f32_e32 v10, v4, v2
	v_fma_f32 v4, v2, v5, -v3
	v_cvt_f64_f32_e32 v[2:3], v10
	v_cvt_f64_f32_e32 v[4:5], v4
	v_mul_f64 v[2:3], v[2:3], s[2:3]
	v_mul_f64 v[4:5], v[4:5], s[2:3]
	v_cvt_f32_f64_e32 v2, v[2:3]
	v_cvt_f32_f64_e32 v3, v[4:5]
	global_store_dwordx2 v[0:1], v[2:3], off
	global_load_dwordx2 v[2:3], v[112:113], off offset:368
	v_add_co_u32 v0, vcc_lo, v0, s4
	v_add_co_ci_u32_e32 v1, vcc_lo, s5, v1, vcc_lo
	s_waitcnt vmcnt(0) lgkmcnt(1)
	v_mul_f32_e32 v4, v7, v3
	v_mul_f32_e32 v3, v6, v3
	v_fmac_f32_e32 v4, v6, v2
	v_fma_f32 v5, v2, v7, -v3
	v_cvt_f64_f32_e32 v[2:3], v4
	v_cvt_f64_f32_e32 v[4:5], v5
	v_mul_f64 v[2:3], v[2:3], s[2:3]
	v_mul_f64 v[4:5], v[4:5], s[2:3]
	v_cvt_f32_f64_e32 v2, v[2:3]
	v_cvt_f32_f64_e32 v3, v[4:5]
	global_store_dwordx2 v[0:1], v[2:3], off
	global_load_dwordx2 v[2:3], v[114:115], off offset:624
	v_add_co_u32 v0, vcc_lo, v0, s4
	v_add_co_ci_u32_e32 v1, vcc_lo, s5, v1, vcc_lo
	s_waitcnt vmcnt(0) lgkmcnt(0)
	v_mul_f32_e32 v4, v9, v3
	v_mul_f32_e32 v3, v8, v3
	v_fmac_f32_e32 v4, v8, v2
	v_fma_f32 v5, v2, v9, -v3
	v_cvt_f64_f32_e32 v[2:3], v4
	v_cvt_f64_f32_e32 v[4:5], v5
	v_mul_f64 v[2:3], v[2:3], s[2:3]
	v_mul_f64 v[4:5], v[4:5], s[2:3]
	v_cvt_f32_f64_e32 v2, v[2:3]
	v_cvt_f32_f64_e32 v3, v[4:5]
	global_store_dwordx2 v[0:1], v[2:3], off
.LBB0_31:
	s_endpgm
	.section	.rodata,"a",@progbits
	.p2align	6, 0x0
	.amdhsa_kernel bluestein_single_back_len864_dim1_sp_op_CI_CI
		.amdhsa_group_segment_fixed_size 6912
		.amdhsa_private_segment_fixed_size 0
		.amdhsa_kernarg_size 104
		.amdhsa_user_sgpr_count 6
		.amdhsa_user_sgpr_private_segment_buffer 1
		.amdhsa_user_sgpr_dispatch_ptr 0
		.amdhsa_user_sgpr_queue_ptr 0
		.amdhsa_user_sgpr_kernarg_segment_ptr 1
		.amdhsa_user_sgpr_dispatch_id 0
		.amdhsa_user_sgpr_flat_scratch_init 0
		.amdhsa_user_sgpr_private_segment_size 0
		.amdhsa_wavefront_size32 1
		.amdhsa_uses_dynamic_stack 0
		.amdhsa_system_sgpr_private_segment_wavefront_offset 0
		.amdhsa_system_sgpr_workgroup_id_x 1
		.amdhsa_system_sgpr_workgroup_id_y 0
		.amdhsa_system_sgpr_workgroup_id_z 0
		.amdhsa_system_sgpr_workgroup_info 0
		.amdhsa_system_vgpr_workitem_id 0
		.amdhsa_next_free_vgpr 218
		.amdhsa_next_free_sgpr 18
		.amdhsa_reserve_vcc 1
		.amdhsa_reserve_flat_scratch 0
		.amdhsa_float_round_mode_32 0
		.amdhsa_float_round_mode_16_64 0
		.amdhsa_float_denorm_mode_32 3
		.amdhsa_float_denorm_mode_16_64 3
		.amdhsa_dx10_clamp 1
		.amdhsa_ieee_mode 1
		.amdhsa_fp16_overflow 0
		.amdhsa_workgroup_processor_mode 1
		.amdhsa_memory_ordered 1
		.amdhsa_forward_progress 0
		.amdhsa_shared_vgpr_count 0
		.amdhsa_exception_fp_ieee_invalid_op 0
		.amdhsa_exception_fp_denorm_src 0
		.amdhsa_exception_fp_ieee_div_zero 0
		.amdhsa_exception_fp_ieee_overflow 0
		.amdhsa_exception_fp_ieee_underflow 0
		.amdhsa_exception_fp_ieee_inexact 0
		.amdhsa_exception_int_div_zero 0
	.end_amdhsa_kernel
	.text
.Lfunc_end0:
	.size	bluestein_single_back_len864_dim1_sp_op_CI_CI, .Lfunc_end0-bluestein_single_back_len864_dim1_sp_op_CI_CI
                                        ; -- End function
	.section	.AMDGPU.csdata,"",@progbits
; Kernel info:
; codeLenInByte = 14064
; NumSgprs: 20
; NumVgprs: 218
; ScratchSize: 0
; MemoryBound: 0
; FloatMode: 240
; IeeeMode: 1
; LDSByteSize: 6912 bytes/workgroup (compile time only)
; SGPRBlocks: 2
; VGPRBlocks: 27
; NumSGPRsForWavesPerEU: 20
; NumVGPRsForWavesPerEU: 218
; Occupancy: 4
; WaveLimiterHint : 1
; COMPUTE_PGM_RSRC2:SCRATCH_EN: 0
; COMPUTE_PGM_RSRC2:USER_SGPR: 6
; COMPUTE_PGM_RSRC2:TRAP_HANDLER: 0
; COMPUTE_PGM_RSRC2:TGID_X_EN: 1
; COMPUTE_PGM_RSRC2:TGID_Y_EN: 0
; COMPUTE_PGM_RSRC2:TGID_Z_EN: 0
; COMPUTE_PGM_RSRC2:TIDIG_COMP_CNT: 0
	.text
	.p2alignl 6, 3214868480
	.fill 48, 4, 3214868480
	.type	__hip_cuid_fe621833f8455328,@object ; @__hip_cuid_fe621833f8455328
	.section	.bss,"aw",@nobits
	.globl	__hip_cuid_fe621833f8455328
__hip_cuid_fe621833f8455328:
	.byte	0                               ; 0x0
	.size	__hip_cuid_fe621833f8455328, 1

	.ident	"AMD clang version 19.0.0git (https://github.com/RadeonOpenCompute/llvm-project roc-6.4.0 25133 c7fe45cf4b819c5991fe208aaa96edf142730f1d)"
	.section	".note.GNU-stack","",@progbits
	.addrsig
	.addrsig_sym __hip_cuid_fe621833f8455328
	.amdgpu_metadata
---
amdhsa.kernels:
  - .args:
      - .actual_access:  read_only
        .address_space:  global
        .offset:         0
        .size:           8
        .value_kind:     global_buffer
      - .actual_access:  read_only
        .address_space:  global
        .offset:         8
        .size:           8
        .value_kind:     global_buffer
      - .actual_access:  read_only
        .address_space:  global
        .offset:         16
        .size:           8
        .value_kind:     global_buffer
      - .actual_access:  read_only
        .address_space:  global
        .offset:         24
        .size:           8
        .value_kind:     global_buffer
      - .actual_access:  read_only
        .address_space:  global
        .offset:         32
        .size:           8
        .value_kind:     global_buffer
      - .offset:         40
        .size:           8
        .value_kind:     by_value
      - .address_space:  global
        .offset:         48
        .size:           8
        .value_kind:     global_buffer
      - .address_space:  global
        .offset:         56
        .size:           8
        .value_kind:     global_buffer
      - .address_space:  global
        .offset:         64
        .size:           8
        .value_kind:     global_buffer
      - .address_space:  global
        .offset:         72
        .size:           8
        .value_kind:     global_buffer
      - .offset:         80
        .size:           4
        .value_kind:     by_value
      - .address_space:  global
        .offset:         88
        .size:           8
        .value_kind:     global_buffer
      - .address_space:  global
        .offset:         96
        .size:           8
        .value_kind:     global_buffer
    .group_segment_fixed_size: 6912
    .kernarg_segment_align: 8
    .kernarg_segment_size: 104
    .language:       OpenCL C
    .language_version:
      - 2
      - 0
    .max_flat_workgroup_size: 54
    .name:           bluestein_single_back_len864_dim1_sp_op_CI_CI
    .private_segment_fixed_size: 0
    .sgpr_count:     20
    .sgpr_spill_count: 0
    .symbol:         bluestein_single_back_len864_dim1_sp_op_CI_CI.kd
    .uniform_work_group_size: 1
    .uses_dynamic_stack: false
    .vgpr_count:     218
    .vgpr_spill_count: 0
    .wavefront_size: 32
    .workgroup_processor_mode: 1
amdhsa.target:   amdgcn-amd-amdhsa--gfx1030
amdhsa.version:
  - 1
  - 2
...

	.end_amdgpu_metadata
